;; amdgpu-corpus repo=ROCm/rocFFT kind=compiled arch=gfx1201 opt=O3
	.text
	.amdgcn_target "amdgcn-amd-amdhsa--gfx1201"
	.amdhsa_code_object_version 6
	.protected	fft_rtc_fwd_len1300_factors_10_10_13_wgs_130_tpt_130_dp_op_CI_CI_unitstride_sbrr_C2R_dirReg ; -- Begin function fft_rtc_fwd_len1300_factors_10_10_13_wgs_130_tpt_130_dp_op_CI_CI_unitstride_sbrr_C2R_dirReg
	.globl	fft_rtc_fwd_len1300_factors_10_10_13_wgs_130_tpt_130_dp_op_CI_CI_unitstride_sbrr_C2R_dirReg
	.p2align	8
	.type	fft_rtc_fwd_len1300_factors_10_10_13_wgs_130_tpt_130_dp_op_CI_CI_unitstride_sbrr_C2R_dirReg,@function
fft_rtc_fwd_len1300_factors_10_10_13_wgs_130_tpt_130_dp_op_CI_CI_unitstride_sbrr_C2R_dirReg: ; @fft_rtc_fwd_len1300_factors_10_10_13_wgs_130_tpt_130_dp_op_CI_CI_unitstride_sbrr_C2R_dirReg
; %bb.0:
	s_clause 0x2
	s_load_b128 s[8:11], s[0:1], 0x0
	s_load_b128 s[4:7], s[0:1], 0x58
	;; [unrolled: 1-line block ×3, first 2 shown]
	v_mul_u32_u24_e32 v1, 0x1f9, v0
	v_mov_b32_e32 v3, 0
	s_delay_alu instid0(VALU_DEP_2) | instskip(NEXT) | instid1(VALU_DEP_1)
	v_lshrrev_b32_e32 v1, 16, v1
	v_add_nc_u32_e32 v5, ttmp9, v1
	v_mov_b32_e32 v1, 0
	v_mov_b32_e32 v2, 0
	;; [unrolled: 1-line block ×3, first 2 shown]
	s_wait_kmcnt 0x0
	v_cmp_lt_u64_e64 s2, s[10:11], 2
	s_delay_alu instid0(VALU_DEP_1)
	s_and_b32 vcc_lo, exec_lo, s2
	s_cbranch_vccnz .LBB0_8
; %bb.1:
	s_load_b64 s[2:3], s[0:1], 0x10
	v_mov_b32_e32 v1, 0
	v_mov_b32_e32 v2, 0
	s_add_nc_u64 s[16:17], s[14:15], 8
	s_add_nc_u64 s[18:19], s[12:13], 8
	s_mov_b64 s[20:21], 1
	s_delay_alu instid0(VALU_DEP_1)
	v_dual_mov_b32 v61, v2 :: v_dual_mov_b32 v60, v1
	s_wait_kmcnt 0x0
	s_add_nc_u64 s[22:23], s[2:3], 8
	s_mov_b32 s3, 0
.LBB0_2:                                ; =>This Inner Loop Header: Depth=1
	s_load_b64 s[24:25], s[22:23], 0x0
                                        ; implicit-def: $vgpr64_vgpr65
	s_mov_b32 s2, exec_lo
	s_wait_kmcnt 0x0
	v_or_b32_e32 v4, s25, v6
	s_delay_alu instid0(VALU_DEP_1)
	v_cmpx_ne_u64_e32 0, v[3:4]
	s_wait_alu 0xfffe
	s_xor_b32 s26, exec_lo, s2
	s_cbranch_execz .LBB0_4
; %bb.3:                                ;   in Loop: Header=BB0_2 Depth=1
	s_cvt_f32_u32 s2, s24
	s_cvt_f32_u32 s27, s25
	s_sub_nc_u64 s[30:31], 0, s[24:25]
	s_wait_alu 0xfffe
	s_delay_alu instid0(SALU_CYCLE_1) | instskip(SKIP_1) | instid1(SALU_CYCLE_2)
	s_fmamk_f32 s2, s27, 0x4f800000, s2
	s_wait_alu 0xfffe
	v_s_rcp_f32 s2, s2
	s_delay_alu instid0(TRANS32_DEP_1) | instskip(SKIP_1) | instid1(SALU_CYCLE_2)
	s_mul_f32 s2, s2, 0x5f7ffffc
	s_wait_alu 0xfffe
	s_mul_f32 s27, s2, 0x2f800000
	s_wait_alu 0xfffe
	s_delay_alu instid0(SALU_CYCLE_2) | instskip(SKIP_1) | instid1(SALU_CYCLE_2)
	s_trunc_f32 s27, s27
	s_wait_alu 0xfffe
	s_fmamk_f32 s2, s27, 0xcf800000, s2
	s_cvt_u32_f32 s29, s27
	s_wait_alu 0xfffe
	s_delay_alu instid0(SALU_CYCLE_1) | instskip(SKIP_1) | instid1(SALU_CYCLE_2)
	s_cvt_u32_f32 s28, s2
	s_wait_alu 0xfffe
	s_mul_u64 s[34:35], s[30:31], s[28:29]
	s_wait_alu 0xfffe
	s_mul_hi_u32 s37, s28, s35
	s_mul_i32 s36, s28, s35
	s_mul_hi_u32 s2, s28, s34
	s_mul_i32 s33, s29, s34
	s_wait_alu 0xfffe
	s_add_nc_u64 s[36:37], s[2:3], s[36:37]
	s_mul_hi_u32 s27, s29, s34
	s_mul_hi_u32 s38, s29, s35
	s_add_co_u32 s2, s36, s33
	s_wait_alu 0xfffe
	s_add_co_ci_u32 s2, s37, s27
	s_mul_i32 s34, s29, s35
	s_add_co_ci_u32 s35, s38, 0
	s_wait_alu 0xfffe
	s_add_nc_u64 s[34:35], s[2:3], s[34:35]
	s_wait_alu 0xfffe
	v_add_co_u32 v4, s2, s28, s34
	s_delay_alu instid0(VALU_DEP_1) | instskip(SKIP_1) | instid1(VALU_DEP_1)
	s_cmp_lg_u32 s2, 0
	s_add_co_ci_u32 s29, s29, s35
	v_readfirstlane_b32 s28, v4
	s_wait_alu 0xfffe
	s_delay_alu instid0(VALU_DEP_1)
	s_mul_u64 s[30:31], s[30:31], s[28:29]
	s_wait_alu 0xfffe
	s_mul_hi_u32 s35, s28, s31
	s_mul_i32 s34, s28, s31
	s_mul_hi_u32 s2, s28, s30
	s_mul_i32 s33, s29, s30
	s_wait_alu 0xfffe
	s_add_nc_u64 s[34:35], s[2:3], s[34:35]
	s_mul_hi_u32 s27, s29, s30
	s_mul_hi_u32 s28, s29, s31
	s_wait_alu 0xfffe
	s_add_co_u32 s2, s34, s33
	s_add_co_ci_u32 s2, s35, s27
	s_mul_i32 s30, s29, s31
	s_add_co_ci_u32 s31, s28, 0
	s_wait_alu 0xfffe
	s_add_nc_u64 s[30:31], s[2:3], s[30:31]
	s_wait_alu 0xfffe
	v_add_co_u32 v4, s2, v4, s30
	s_delay_alu instid0(VALU_DEP_1) | instskip(SKIP_1) | instid1(VALU_DEP_1)
	s_cmp_lg_u32 s2, 0
	s_add_co_ci_u32 s2, s29, s31
	v_mul_hi_u32 v13, v5, v4
	s_wait_alu 0xfffe
	v_mad_co_u64_u32 v[7:8], null, v5, s2, 0
	v_mad_co_u64_u32 v[9:10], null, v6, v4, 0
	;; [unrolled: 1-line block ×3, first 2 shown]
	s_delay_alu instid0(VALU_DEP_3) | instskip(SKIP_1) | instid1(VALU_DEP_4)
	v_add_co_u32 v4, vcc_lo, v13, v7
	s_wait_alu 0xfffd
	v_add_co_ci_u32_e32 v7, vcc_lo, 0, v8, vcc_lo
	s_delay_alu instid0(VALU_DEP_2) | instskip(SKIP_1) | instid1(VALU_DEP_2)
	v_add_co_u32 v4, vcc_lo, v4, v9
	s_wait_alu 0xfffd
	v_add_co_ci_u32_e32 v4, vcc_lo, v7, v10, vcc_lo
	s_wait_alu 0xfffd
	v_add_co_ci_u32_e32 v7, vcc_lo, 0, v12, vcc_lo
	s_delay_alu instid0(VALU_DEP_2) | instskip(SKIP_1) | instid1(VALU_DEP_2)
	v_add_co_u32 v4, vcc_lo, v4, v11
	s_wait_alu 0xfffd
	v_add_co_ci_u32_e32 v9, vcc_lo, 0, v7, vcc_lo
	s_delay_alu instid0(VALU_DEP_2) | instskip(SKIP_1) | instid1(VALU_DEP_3)
	v_mul_lo_u32 v10, s25, v4
	v_mad_co_u64_u32 v[7:8], null, s24, v4, 0
	v_mul_lo_u32 v11, s24, v9
	s_delay_alu instid0(VALU_DEP_2) | instskip(NEXT) | instid1(VALU_DEP_2)
	v_sub_co_u32 v7, vcc_lo, v5, v7
	v_add3_u32 v8, v8, v11, v10
	s_delay_alu instid0(VALU_DEP_1) | instskip(SKIP_1) | instid1(VALU_DEP_1)
	v_sub_nc_u32_e32 v10, v6, v8
	s_wait_alu 0xfffd
	v_subrev_co_ci_u32_e64 v10, s2, s25, v10, vcc_lo
	v_add_co_u32 v11, s2, v4, 2
	s_wait_alu 0xf1ff
	v_add_co_ci_u32_e64 v12, s2, 0, v9, s2
	v_sub_co_u32 v13, s2, v7, s24
	v_sub_co_ci_u32_e32 v8, vcc_lo, v6, v8, vcc_lo
	s_wait_alu 0xf1ff
	v_subrev_co_ci_u32_e64 v10, s2, 0, v10, s2
	s_delay_alu instid0(VALU_DEP_3) | instskip(NEXT) | instid1(VALU_DEP_3)
	v_cmp_le_u32_e32 vcc_lo, s24, v13
	v_cmp_eq_u32_e64 s2, s25, v8
	s_wait_alu 0xfffd
	v_cndmask_b32_e64 v13, 0, -1, vcc_lo
	v_cmp_le_u32_e32 vcc_lo, s25, v10
	s_wait_alu 0xfffd
	v_cndmask_b32_e64 v14, 0, -1, vcc_lo
	v_cmp_le_u32_e32 vcc_lo, s24, v7
	;; [unrolled: 3-line block ×3, first 2 shown]
	s_wait_alu 0xfffd
	v_cndmask_b32_e64 v15, 0, -1, vcc_lo
	v_cmp_eq_u32_e32 vcc_lo, s25, v10
	s_wait_alu 0xf1ff
	s_delay_alu instid0(VALU_DEP_2)
	v_cndmask_b32_e64 v7, v15, v7, s2
	s_wait_alu 0xfffd
	v_cndmask_b32_e32 v10, v14, v13, vcc_lo
	v_add_co_u32 v13, vcc_lo, v4, 1
	s_wait_alu 0xfffd
	v_add_co_ci_u32_e32 v14, vcc_lo, 0, v9, vcc_lo
	s_delay_alu instid0(VALU_DEP_3) | instskip(SKIP_1) | instid1(VALU_DEP_2)
	v_cmp_ne_u32_e32 vcc_lo, 0, v10
	s_wait_alu 0xfffd
	v_cndmask_b32_e32 v8, v14, v12, vcc_lo
	v_cndmask_b32_e32 v10, v13, v11, vcc_lo
	v_cmp_ne_u32_e32 vcc_lo, 0, v7
	s_wait_alu 0xfffd
	s_delay_alu instid0(VALU_DEP_2)
	v_dual_cndmask_b32 v65, v9, v8 :: v_dual_cndmask_b32 v64, v4, v10
.LBB0_4:                                ;   in Loop: Header=BB0_2 Depth=1
	s_wait_alu 0xfffe
	s_and_not1_saveexec_b32 s2, s26
	s_cbranch_execz .LBB0_6
; %bb.5:                                ;   in Loop: Header=BB0_2 Depth=1
	v_cvt_f32_u32_e32 v4, s24
	s_sub_co_i32 s26, 0, s24
	v_mov_b32_e32 v65, v3
	s_delay_alu instid0(VALU_DEP_2) | instskip(NEXT) | instid1(TRANS32_DEP_1)
	v_rcp_iflag_f32_e32 v4, v4
	v_mul_f32_e32 v4, 0x4f7ffffe, v4
	s_delay_alu instid0(VALU_DEP_1) | instskip(SKIP_1) | instid1(VALU_DEP_1)
	v_cvt_u32_f32_e32 v4, v4
	s_wait_alu 0xfffe
	v_mul_lo_u32 v7, s26, v4
	s_delay_alu instid0(VALU_DEP_1) | instskip(NEXT) | instid1(VALU_DEP_1)
	v_mul_hi_u32 v7, v4, v7
	v_add_nc_u32_e32 v4, v4, v7
	s_delay_alu instid0(VALU_DEP_1) | instskip(NEXT) | instid1(VALU_DEP_1)
	v_mul_hi_u32 v4, v5, v4
	v_mul_lo_u32 v7, v4, s24
	v_add_nc_u32_e32 v8, 1, v4
	s_delay_alu instid0(VALU_DEP_2) | instskip(NEXT) | instid1(VALU_DEP_1)
	v_sub_nc_u32_e32 v7, v5, v7
	v_subrev_nc_u32_e32 v9, s24, v7
	v_cmp_le_u32_e32 vcc_lo, s24, v7
	s_wait_alu 0xfffd
	s_delay_alu instid0(VALU_DEP_2) | instskip(NEXT) | instid1(VALU_DEP_1)
	v_dual_cndmask_b32 v7, v7, v9 :: v_dual_cndmask_b32 v4, v4, v8
	v_cmp_le_u32_e32 vcc_lo, s24, v7
	s_delay_alu instid0(VALU_DEP_2) | instskip(SKIP_1) | instid1(VALU_DEP_1)
	v_add_nc_u32_e32 v8, 1, v4
	s_wait_alu 0xfffd
	v_cndmask_b32_e32 v64, v4, v8, vcc_lo
.LBB0_6:                                ;   in Loop: Header=BB0_2 Depth=1
	s_wait_alu 0xfffe
	s_or_b32 exec_lo, exec_lo, s2
	v_mul_lo_u32 v4, v65, s24
	s_delay_alu instid0(VALU_DEP_2)
	v_mul_lo_u32 v9, v64, s25
	s_load_b64 s[26:27], s[18:19], 0x0
	v_mad_co_u64_u32 v[7:8], null, v64, s24, 0
	s_load_b64 s[24:25], s[16:17], 0x0
	s_add_nc_u64 s[20:21], s[20:21], 1
	s_add_nc_u64 s[16:17], s[16:17], 8
	s_wait_alu 0xfffe
	v_cmp_ge_u64_e64 s2, s[20:21], s[10:11]
	s_add_nc_u64 s[18:19], s[18:19], 8
	s_add_nc_u64 s[22:23], s[22:23], 8
	v_add3_u32 v4, v8, v9, v4
	v_sub_co_u32 v5, vcc_lo, v5, v7
	s_wait_alu 0xfffd
	s_delay_alu instid0(VALU_DEP_2) | instskip(SKIP_2) | instid1(VALU_DEP_1)
	v_sub_co_ci_u32_e32 v4, vcc_lo, v6, v4, vcc_lo
	s_and_b32 vcc_lo, exec_lo, s2
	s_wait_kmcnt 0x0
	v_mul_lo_u32 v6, s26, v4
	v_mul_lo_u32 v7, s27, v5
	v_mad_co_u64_u32 v[1:2], null, s26, v5, v[1:2]
	v_mul_lo_u32 v4, s24, v4
	v_mul_lo_u32 v8, s25, v5
	v_mad_co_u64_u32 v[60:61], null, s24, v5, v[60:61]
	s_delay_alu instid0(VALU_DEP_4) | instskip(NEXT) | instid1(VALU_DEP_2)
	v_add3_u32 v2, v7, v2, v6
	v_add3_u32 v61, v8, v61, v4
	s_wait_alu 0xfffe
	s_cbranch_vccnz .LBB0_9
; %bb.7:                                ;   in Loop: Header=BB0_2 Depth=1
	v_dual_mov_b32 v5, v64 :: v_dual_mov_b32 v6, v65
	s_branch .LBB0_2
.LBB0_8:
	v_dual_mov_b32 v61, v2 :: v_dual_mov_b32 v60, v1
	v_dual_mov_b32 v65, v6 :: v_dual_mov_b32 v64, v5
.LBB0_9:
	s_load_b64 s[0:1], s[0:1], 0x28
	v_mul_hi_u32 v3, 0x1f81f82, v0
	s_lshl_b64 s[10:11], s[10:11], 3
                                        ; implicit-def: $vgpr62
	s_wait_alu 0xfffe
	s_add_nc_u64 s[2:3], s[14:15], s[10:11]
	s_wait_kmcnt 0x0
	v_cmp_gt_u64_e32 vcc_lo, s[0:1], v[64:65]
	v_cmp_le_u64_e64 s0, s[0:1], v[64:65]
	s_delay_alu instid0(VALU_DEP_1)
	s_and_saveexec_b32 s1, s0
	s_wait_alu 0xfffe
	s_xor_b32 s0, exec_lo, s1
; %bb.10:
	v_mul_u32_u24_e32 v1, 0x82, v3
                                        ; implicit-def: $vgpr3
	s_delay_alu instid0(VALU_DEP_1)
	v_sub_nc_u32_e32 v62, v0, v1
                                        ; implicit-def: $vgpr0
                                        ; implicit-def: $vgpr1_vgpr2
; %bb.11:
	s_wait_alu 0xfffe
	s_or_saveexec_b32 s1, s0
	s_load_b64 s[2:3], s[2:3], 0x0
	s_xor_b32 exec_lo, exec_lo, s1
	s_cbranch_execz .LBB0_15
; %bb.12:
	s_add_nc_u64 s[10:11], s[12:13], s[10:11]
	v_lshlrev_b64_e32 v[1:2], 4, v[1:2]
	s_load_b64 s[10:11], s[10:11], 0x0
	s_wait_kmcnt 0x0
	v_mul_lo_u32 v6, s11, v64
	v_mul_lo_u32 v7, s10, v65
	v_mad_co_u64_u32 v[4:5], null, s10, v64, 0
	s_delay_alu instid0(VALU_DEP_1) | instskip(SKIP_1) | instid1(VALU_DEP_2)
	v_add3_u32 v5, v5, v7, v6
	v_mul_u32_u24_e32 v6, 0x82, v3
	v_lshlrev_b64_e32 v[3:4], 4, v[4:5]
	s_delay_alu instid0(VALU_DEP_2) | instskip(NEXT) | instid1(VALU_DEP_1)
	v_sub_nc_u32_e32 v62, v0, v6
	v_lshlrev_b32_e32 v42, 4, v62
	s_delay_alu instid0(VALU_DEP_3) | instskip(SKIP_1) | instid1(VALU_DEP_4)
	v_add_co_u32 v0, s0, s4, v3
	s_wait_alu 0xf1ff
	v_add_co_ci_u32_e64 v3, s0, s5, v4, s0
	s_mov_b32 s4, exec_lo
	s_delay_alu instid0(VALU_DEP_2) | instskip(SKIP_1) | instid1(VALU_DEP_2)
	v_add_co_u32 v0, s0, v0, v1
	s_wait_alu 0xf1ff
	v_add_co_ci_u32_e64 v1, s0, v3, v2, s0
	s_delay_alu instid0(VALU_DEP_2) | instskip(SKIP_1) | instid1(VALU_DEP_2)
	v_add_co_u32 v38, s0, v0, v42
	s_wait_alu 0xf1ff
	v_add_co_ci_u32_e64 v39, s0, 0, v1, s0
	s_clause 0x9
	global_load_b128 v[2:5], v[38:39], off
	global_load_b128 v[6:9], v[38:39], off offset:2080
	global_load_b128 v[10:13], v[38:39], off offset:4160
	global_load_b128 v[14:17], v[38:39], off offset:6240
	global_load_b128 v[18:21], v[38:39], off offset:8320
	global_load_b128 v[22:25], v[38:39], off offset:10400
	global_load_b128 v[26:29], v[38:39], off offset:12480
	global_load_b128 v[30:33], v[38:39], off offset:14560
	global_load_b128 v[34:37], v[38:39], off offset:16640
	global_load_b128 v[38:41], v[38:39], off offset:18720
	v_add_nc_u32_e32 v42, 0, v42
	s_wait_loadcnt 0x9
	ds_store_b128 v42, v[2:5]
	s_wait_loadcnt 0x8
	ds_store_b128 v42, v[6:9] offset:2080
	s_wait_loadcnt 0x7
	ds_store_b128 v42, v[10:13] offset:4160
	;; [unrolled: 2-line block ×9, first 2 shown]
	v_cmpx_eq_u32_e32 0x81, v62
	s_cbranch_execz .LBB0_14
; %bb.13:
	global_load_b128 v[0:3], v[0:1], off offset:20800
	v_mov_b32_e32 v4, 0
	v_mov_b32_e32 v62, 0x81
	s_wait_loadcnt 0x0
	ds_store_b128 v4, v[0:3] offset:20800
.LBB0_14:
	s_wait_alu 0xfffe
	s_or_b32 exec_lo, exec_lo, s4
.LBB0_15:
	s_delay_alu instid0(SALU_CYCLE_1)
	s_or_b32 exec_lo, exec_lo, s1
	v_lshlrev_b32_e32 v0, 4, v62
	global_wb scope:SCOPE_SE
	s_wait_dscnt 0x0
	s_wait_kmcnt 0x0
	s_barrier_signal -1
	s_barrier_wait -1
	global_inv scope:SCOPE_SE
	v_add_nc_u32_e32 v82, 0, v0
	v_sub_nc_u32_e32 v10, 0, v0
	s_mov_b32 s1, exec_lo
                                        ; implicit-def: $vgpr4_vgpr5
	ds_load_b64 v[6:7], v82
	ds_load_b64 v[8:9], v10 offset:20800
	s_wait_dscnt 0x0
	v_add_f64_e32 v[0:1], v[6:7], v[8:9]
	v_add_f64_e64 v[2:3], v[6:7], -v[8:9]
	v_cmpx_ne_u32_e32 0, v62
	s_wait_alu 0xfffe
	s_xor_b32 s1, exec_lo, s1
	s_cbranch_execz .LBB0_17
; %bb.16:
	v_mov_b32_e32 v63, 0
	v_add_f64_e32 v[13:14], v[6:7], v[8:9]
	v_add_f64_e64 v[15:16], v[6:7], -v[8:9]
	s_delay_alu instid0(VALU_DEP_3) | instskip(NEXT) | instid1(VALU_DEP_1)
	v_lshlrev_b64_e32 v[0:1], 4, v[62:63]
	v_add_co_u32 v0, s0, s8, v0
	s_wait_alu 0xf1ff
	s_delay_alu instid0(VALU_DEP_2)
	v_add_co_ci_u32_e64 v1, s0, s9, v1, s0
	global_load_b128 v[2:5], v[0:1], off offset:20640
	ds_load_b64 v[0:1], v10 offset:20808
	ds_load_b64 v[11:12], v82 offset:8
	s_wait_dscnt 0x0
	v_add_f64_e32 v[6:7], v[0:1], v[11:12]
	v_add_f64_e64 v[0:1], v[11:12], -v[0:1]
	s_wait_loadcnt 0x0
	v_fma_f64 v[8:9], v[15:16], v[4:5], v[13:14]
	v_fma_f64 v[11:12], -v[15:16], v[4:5], v[13:14]
	s_delay_alu instid0(VALU_DEP_3) | instskip(SKIP_1) | instid1(VALU_DEP_4)
	v_fma_f64 v[13:14], v[6:7], v[4:5], -v[0:1]
	v_fma_f64 v[4:5], v[6:7], v[4:5], v[0:1]
	v_fma_f64 v[0:1], -v[6:7], v[2:3], v[8:9]
	s_delay_alu instid0(VALU_DEP_4) | instskip(NEXT) | instid1(VALU_DEP_4)
	v_fma_f64 v[6:7], v[6:7], v[2:3], v[11:12]
	v_fma_f64 v[8:9], v[15:16], v[2:3], v[13:14]
	s_delay_alu instid0(VALU_DEP_4)
	v_fma_f64 v[2:3], v[15:16], v[2:3], v[4:5]
	v_dual_mov_b32 v4, v62 :: v_dual_mov_b32 v5, v63
	ds_store_b128 v10, v[6:9] offset:20800
.LBB0_17:
	s_wait_alu 0xfffe
	s_and_not1_saveexec_b32 s0, s1
	s_cbranch_execz .LBB0_19
; %bb.18:
	v_mov_b32_e32 v8, 0
	ds_load_b128 v[4:7], v8 offset:10400
	s_wait_dscnt 0x0
	v_add_f64_e32 v[11:12], v[4:5], v[4:5]
	v_mul_f64_e32 v[13:14], -2.0, v[6:7]
	v_mov_b32_e32 v4, 0
	v_mov_b32_e32 v5, 0
	ds_store_b128 v8, v[11:14] offset:10400
.LBB0_19:
	s_wait_alu 0xfffe
	s_or_b32 exec_lo, exec_lo, s0
	v_lshlrev_b64_e32 v[4:5], 4, v[4:5]
	s_add_nc_u64 s[0:1], s[8:9], 0x50a0
	s_mov_b32 s4, 0x134454ff
	s_mov_b32 s5, 0x3fee6f0e
	;; [unrolled: 1-line block ×4, first 2 shown]
	s_wait_alu 0xfffe
	v_add_co_u32 v23, s0, s0, v4
	s_wait_alu 0xf1ff
	v_add_co_ci_u32_e64 v24, s0, s1, v5, s0
	s_mov_b32 s1, 0xbfee6f0e
	s_mov_b32 s0, s4
	;; [unrolled: 1-line block ×3, first 2 shown]
	s_clause 0x1
	global_load_b128 v[4:7], v[23:24], off offset:2080
	global_load_b128 v[11:14], v[23:24], off offset:4160
	ds_store_b128 v82, v[0:3]
	ds_load_b128 v[0:3], v82 offset:2080
	ds_load_b128 v[15:18], v10 offset:18720
	global_load_b128 v[19:22], v[23:24], off offset:6240
	s_mov_b32 s12, s10
	s_mov_b32 s14, 0x372fe950
	;; [unrolled: 1-line block ×5, first 2 shown]
	s_wait_dscnt 0x0
	v_add_f64_e32 v[8:9], v[0:1], v[15:16]
	v_add_f64_e32 v[25:26], v[17:18], v[2:3]
	v_add_f64_e64 v[15:16], v[0:1], -v[15:16]
	v_add_f64_e64 v[0:1], v[2:3], -v[17:18]
	s_wait_loadcnt 0x2
	s_delay_alu instid0(VALU_DEP_2) | instskip(NEXT) | instid1(VALU_DEP_2)
	v_fma_f64 v[2:3], v[15:16], v[6:7], v[8:9]
	v_fma_f64 v[17:18], v[25:26], v[6:7], v[0:1]
	v_fma_f64 v[8:9], -v[15:16], v[6:7], v[8:9]
	v_fma_f64 v[27:28], v[25:26], v[6:7], -v[0:1]
	s_delay_alu instid0(VALU_DEP_4) | instskip(NEXT) | instid1(VALU_DEP_4)
	v_fma_f64 v[0:1], -v[25:26], v[4:5], v[2:3]
	v_fma_f64 v[2:3], v[15:16], v[4:5], v[17:18]
	s_delay_alu instid0(VALU_DEP_4) | instskip(NEXT) | instid1(VALU_DEP_4)
	v_fma_f64 v[6:7], v[25:26], v[4:5], v[8:9]
	v_fma_f64 v[8:9], v[15:16], v[4:5], v[27:28]
	ds_store_b128 v82, v[0:3] offset:2080
	ds_store_b128 v10, v[6:9] offset:18720
	ds_load_b128 v[0:3], v82 offset:4160
	ds_load_b128 v[4:7], v10 offset:16640
	global_load_b128 v[15:18], v[23:24], off offset:8320
	s_wait_dscnt 0x0
	v_add_f64_e32 v[8:9], v[0:1], v[4:5]
	v_add_f64_e32 v[23:24], v[6:7], v[2:3]
	v_add_f64_e64 v[25:26], v[0:1], -v[4:5]
	v_add_f64_e64 v[0:1], v[2:3], -v[6:7]
	s_wait_loadcnt 0x2
	s_delay_alu instid0(VALU_DEP_2) | instskip(NEXT) | instid1(VALU_DEP_2)
	v_fma_f64 v[2:3], v[25:26], v[13:14], v[8:9]
	v_fma_f64 v[4:5], v[23:24], v[13:14], v[0:1]
	v_fma_f64 v[6:7], -v[25:26], v[13:14], v[8:9]
	v_fma_f64 v[8:9], v[23:24], v[13:14], -v[0:1]
	s_delay_alu instid0(VALU_DEP_4) | instskip(NEXT) | instid1(VALU_DEP_4)
	v_fma_f64 v[0:1], -v[23:24], v[11:12], v[2:3]
	v_fma_f64 v[2:3], v[25:26], v[11:12], v[4:5]
	s_delay_alu instid0(VALU_DEP_4) | instskip(NEXT) | instid1(VALU_DEP_4)
	v_fma_f64 v[4:5], v[23:24], v[11:12], v[6:7]
	v_fma_f64 v[6:7], v[25:26], v[11:12], v[8:9]
	ds_store_b128 v82, v[0:3] offset:4160
	ds_store_b128 v10, v[4:7] offset:16640
	ds_load_b128 v[0:3], v82 offset:6240
	ds_load_b128 v[4:7], v10 offset:14560
	s_wait_dscnt 0x0
	v_add_f64_e32 v[8:9], v[0:1], v[4:5]
	v_add_f64_e32 v[11:12], v[6:7], v[2:3]
	v_add_f64_e64 v[13:14], v[0:1], -v[4:5]
	v_add_f64_e64 v[0:1], v[2:3], -v[6:7]
	s_wait_loadcnt 0x1
	s_delay_alu instid0(VALU_DEP_2) | instskip(NEXT) | instid1(VALU_DEP_2)
	v_fma_f64 v[2:3], v[13:14], v[21:22], v[8:9]
	v_fma_f64 v[4:5], v[11:12], v[21:22], v[0:1]
	v_fma_f64 v[6:7], -v[13:14], v[21:22], v[8:9]
	v_fma_f64 v[8:9], v[11:12], v[21:22], -v[0:1]
	s_delay_alu instid0(VALU_DEP_4) | instskip(NEXT) | instid1(VALU_DEP_4)
	v_fma_f64 v[0:1], -v[11:12], v[19:20], v[2:3]
	v_fma_f64 v[2:3], v[13:14], v[19:20], v[4:5]
	s_delay_alu instid0(VALU_DEP_4) | instskip(NEXT) | instid1(VALU_DEP_4)
	v_fma_f64 v[4:5], v[11:12], v[19:20], v[6:7]
	v_fma_f64 v[6:7], v[13:14], v[19:20], v[8:9]
	ds_store_b128 v82, v[0:3] offset:6240
	ds_store_b128 v10, v[4:7] offset:14560
	ds_load_b128 v[0:3], v82 offset:8320
	ds_load_b128 v[4:7], v10 offset:12480
	s_wait_dscnt 0x0
	v_add_f64_e32 v[8:9], v[0:1], v[4:5]
	v_add_f64_e32 v[11:12], v[6:7], v[2:3]
	v_add_f64_e64 v[13:14], v[0:1], -v[4:5]
	v_add_f64_e64 v[0:1], v[2:3], -v[6:7]
	s_wait_loadcnt 0x0
	s_delay_alu instid0(VALU_DEP_2) | instskip(NEXT) | instid1(VALU_DEP_2)
	v_fma_f64 v[2:3], v[13:14], v[17:18], v[8:9]
	v_fma_f64 v[4:5], v[11:12], v[17:18], v[0:1]
	v_fma_f64 v[6:7], -v[13:14], v[17:18], v[8:9]
	v_fma_f64 v[8:9], v[11:12], v[17:18], -v[0:1]
	s_delay_alu instid0(VALU_DEP_4) | instskip(NEXT) | instid1(VALU_DEP_4)
	v_fma_f64 v[0:1], -v[11:12], v[15:16], v[2:3]
	v_fma_f64 v[2:3], v[13:14], v[15:16], v[4:5]
	s_delay_alu instid0(VALU_DEP_4) | instskip(NEXT) | instid1(VALU_DEP_4)
	v_fma_f64 v[4:5], v[11:12], v[15:16], v[6:7]
	v_fma_f64 v[6:7], v[13:14], v[15:16], v[8:9]
	ds_store_b128 v82, v[0:3] offset:8320
	ds_store_b128 v10, v[4:7] offset:12480
	global_wb scope:SCOPE_SE
	s_wait_dscnt 0x0
	s_barrier_signal -1
	s_barrier_wait -1
	global_inv scope:SCOPE_SE
	global_wb scope:SCOPE_SE
	s_barrier_signal -1
	s_barrier_wait -1
	global_inv scope:SCOPE_SE
	ds_load_b128 v[0:3], v82 offset:10400
	ds_load_b128 v[4:7], v82 offset:14560
	;; [unrolled: 1-line block ×9, first 2 shown]
	ds_load_b128 v[36:39], v82
	global_wb scope:SCOPE_SE
	s_wait_dscnt 0x0
	s_barrier_signal -1
	s_barrier_wait -1
	global_inv scope:SCOPE_SE
	v_add_f64_e32 v[40:41], v[0:1], v[4:5]
	v_add_f64_e32 v[46:47], v[2:3], v[6:7]
	;; [unrolled: 1-line block ×4, first 2 shown]
	v_add_f64_e64 v[48:49], v[14:15], -v[10:11]
	v_add_f64_e64 v[50:51], v[2:3], -v[6:7]
	v_add_f64_e64 v[52:53], v[0:1], -v[4:5]
	v_add_f64_e64 v[54:55], v[12:13], -v[8:9]
	v_add_f64_e32 v[56:57], v[20:21], v[24:25]
	v_add_f64_e32 v[58:59], v[16:17], v[28:29]
	;; [unrolled: 1-line block ×4, first 2 shown]
	v_add_f64_e64 v[70:71], v[12:13], -v[0:1]
	v_add_f64_e64 v[72:73], v[8:9], -v[4:5]
	;; [unrolled: 1-line block ×8, first 2 shown]
	v_add_f64_e32 v[12:13], v[32:33], v[12:13]
	v_add_f64_e32 v[14:15], v[34:35], v[14:15]
	v_add_f64_e64 v[95:96], v[18:19], -v[30:31]
	v_add_f64_e64 v[97:98], v[22:23], -v[26:27]
	;; [unrolled: 1-line block ×4, first 2 shown]
	v_fma_f64 v[40:41], v[40:41], -0.5, v[32:33]
	v_fma_f64 v[46:47], v[46:47], -0.5, v[34:35]
	;; [unrolled: 1-line block ×4, first 2 shown]
	v_add_f64_e32 v[32:33], v[36:37], v[16:17]
	v_add_f64_e32 v[34:35], v[38:39], v[18:19]
	v_fma_f64 v[56:57], v[56:57], -0.5, v[36:37]
	v_fma_f64 v[36:37], v[58:59], -0.5, v[36:37]
	v_fma_f64 v[58:59], v[66:67], -0.5, v[38:39]
	v_fma_f64 v[38:39], v[68:69], -0.5, v[38:39]
	v_add_f64_e32 v[66:67], v[70:71], v[72:73]
	v_add_f64_e32 v[68:69], v[74:75], v[76:77]
	;; [unrolled: 1-line block ×3, first 2 shown]
	v_add_f64_e64 v[78:79], v[28:29], -v[24:25]
	v_add_f64_e64 v[80:81], v[24:25], -v[28:29]
	v_add_f64_e32 v[0:1], v[12:13], v[0:1]
	v_add_f64_e32 v[2:3], v[14:15], v[2:3]
	v_fma_f64 v[85:86], v[48:49], s[4:5], v[40:41]
	s_wait_alu 0xfffe
	v_fma_f64 v[40:41], v[48:49], s[0:1], v[40:41]
	v_fma_f64 v[87:88], v[52:53], s[4:5], v[42:43]
	;; [unrolled: 1-line block ×10, first 2 shown]
	v_add_f64_e32 v[0:1], v[0:1], v[4:5]
	v_add_f64_e32 v[2:3], v[2:3], v[6:7]
	v_fma_f64 v[72:73], v[50:51], s[10:11], v[85:86]
	v_fma_f64 v[40:41], v[50:51], s[12:13], v[40:41]
	;; [unrolled: 1-line block ×6, first 2 shown]
	v_add_f64_e32 v[50:51], v[83:84], v[91:92]
	v_fma_f64 v[48:49], v[52:53], s[10:11], v[93:94]
	v_add_f64_e64 v[54:55], v[16:17], -v[20:21]
	v_add_f64_e64 v[16:17], v[20:21], -v[16:17]
	v_add_f64_e64 v[83:84], v[18:19], -v[22:23]
	v_add_f64_e64 v[18:19], v[22:23], -v[18:19]
	v_add_f64_e32 v[20:21], v[32:33], v[20:21]
	v_add_f64_e32 v[22:23], v[34:35], v[22:23]
	v_add_f64_e64 v[85:86], v[30:31], -v[26:27]
	v_fma_f64 v[32:33], v[97:98], s[0:1], v[36:37]
	v_fma_f64 v[34:35], v[97:98], s[4:5], v[36:37]
	;; [unrolled: 1-line block ×6, first 2 shown]
	v_add_f64_e64 v[87:88], v[26:27], -v[30:31]
	v_fma_f64 v[4:5], v[97:98], s[10:11], v[12:13]
	v_fma_f64 v[6:7], v[97:98], s[12:13], v[14:15]
	v_add_f64_e32 v[8:9], v[0:1], v[8:9]
	v_add_f64_e32 v[10:11], v[2:3], v[10:11]
	v_and_b32_e32 v0, 0xff, v62
	s_delay_alu instid0(VALU_DEP_1)
	v_mul_lo_u16 v0, 0xcd, v0
	v_fma_f64 v[52:53], v[66:67], s[14:15], v[72:73]
	v_fma_f64 v[40:41], v[66:67], s[14:15], v[40:41]
	;; [unrolled: 1-line block ×7, first 2 shown]
	v_add_f64_e32 v[54:55], v[54:55], v[78:79]
	v_add_f64_e32 v[16:17], v[16:17], v[80:81]
	v_add_f64_e32 v[20:21], v[20:21], v[24:25]
	v_add_f64_e32 v[22:23], v[22:23], v[26:27]
	v_add_f64_e32 v[66:67], v[83:84], v[85:86]
	v_fma_f64 v[26:27], v[101:102], s[10:11], v[56:57]
	v_fma_f64 v[14:15], v[95:96], s[12:13], v[34:35]
	;; [unrolled: 1-line block ×6, first 2 shown]
	v_add_f64_e32 v[18:19], v[18:19], v[87:88]
	v_fma_f64 v[32:33], v[99:100], s[12:13], v[58:59]
	v_mul_f64_e32 v[38:39], s[16:17], v[52:53]
	v_mul_f64_e32 v[52:53], s[12:13], v[52:53]
	;; [unrolled: 1-line block ×8, first 2 shown]
	v_add_f64_e32 v[20:21], v[20:21], v[28:29]
	v_add_f64_e32 v[22:23], v[22:23], v[30:31]
	v_fma_f64 v[28:29], v[54:55], s[14:15], v[4:5]
	v_fma_f64 v[54:55], v[54:55], s[14:15], v[6:7]
	;; [unrolled: 1-line block ×6, first 2 shown]
	v_lshrrev_b16 v16, 11, v0
	v_fma_f64 v[80:81], v[18:19], s[14:15], v[34:35]
	v_fma_f64 v[32:33], v[18:19], s[14:15], v[32:33]
	s_delay_alu instid0(VALU_DEP_3) | instskip(SKIP_1) | instid1(VALU_DEP_2)
	v_mul_lo_u16 v17, v16, 10
	v_and_b32_e32 v16, 0xffff, v16
	v_sub_nc_u16 v17, v62, v17
	s_delay_alu instid0(VALU_DEP_2) | instskip(NEXT) | instid1(VALU_DEP_2)
	v_mul_u32_u24_e32 v16, 0x640, v16
	v_and_b32_e32 v17, 0xff, v17
	v_fma_f64 v[26:27], v[36:37], s[10:11], v[38:39]
	v_fma_f64 v[36:37], v[36:37], s[16:17], v[52:53]
	;; [unrolled: 1-line block ×3, first 2 shown]
	v_fma_f64 v[38:39], v[42:43], s[4:5], -v[50:51]
	v_fma_f64 v[44:45], v[72:73], s[14:15], v[58:59]
	v_fma_f64 v[46:47], v[74:75], s[0:1], -v[68:69]
	v_fma_f64 v[42:43], v[48:49], s[10:11], -v[56:57]
	;; [unrolled: 1-line block ×3, first 2 shown]
	v_add_f64_e32 v[0:1], v[20:21], v[8:9]
	v_add_f64_e32 v[2:3], v[22:23], v[10:11]
	v_add_f64_e64 v[4:5], v[20:21], -v[8:9]
	v_add_f64_e64 v[6:7], v[22:23], -v[10:11]
	v_add_f64_e32 v[8:9], v[28:29], v[26:27]
	v_add_f64_e32 v[10:11], v[78:79], v[36:37]
	;; [unrolled: 1-line block ×8, first 2 shown]
	v_add_f64_e64 v[26:27], v[28:29], -v[26:27]
	v_add_f64_e64 v[28:29], v[78:79], -v[36:37]
	;; [unrolled: 1-line block ×8, first 2 shown]
	v_mul_u32_u24_e32 v42, 9, v17
	v_mad_u32_u24 v43, 0x90, v62, v82
	ds_store_b128 v43, v[0:3]
	ds_store_b128 v43, v[8:11] offset:16
	ds_store_b128 v43, v[12:15] offset:32
	ds_store_b128 v43, v[18:21] offset:48
	ds_store_b128 v43, v[22:25] offset:64
	ds_store_b128 v43, v[4:7] offset:80
	ds_store_b128 v43, v[26:29] offset:96
	ds_store_b128 v43, v[30:33] offset:112
	ds_store_b128 v43, v[34:37] offset:128
	ds_store_b128 v43, v[38:41] offset:144
	v_lshlrev_b32_e32 v42, 4, v42
	global_wb scope:SCOPE_SE
	s_wait_dscnt 0x0
	s_barrier_signal -1
	s_barrier_wait -1
	global_inv scope:SCOPE_SE
	s_clause 0x8
	global_load_b128 v[0:3], v42, s[8:9] offset:32
	global_load_b128 v[4:7], v42, s[8:9] offset:64
	;; [unrolled: 1-line block ×4, first 2 shown]
	global_load_b128 v[18:21], v42, s[8:9]
	global_load_b128 v[22:25], v42, s[8:9] offset:16
	global_load_b128 v[26:29], v42, s[8:9] offset:48
	;; [unrolled: 1-line block ×4, first 2 shown]
	ds_load_b128 v[38:41], v82 offset:6240
	ds_load_b128 v[42:45], v82 offset:10400
	;; [unrolled: 1-line block ×9, first 2 shown]
	ds_load_b128 v[83:86], v82
	v_lshlrev_b32_e32 v17, 4, v17
	global_wb scope:SCOPE_SE
	s_wait_loadcnt_dscnt 0x0
	s_barrier_signal -1
	s_barrier_wait -1
	global_inv scope:SCOPE_SE
	v_add3_u32 v16, 0, v16, v17
	v_mul_f64_e32 v[58:59], v[40:41], v[2:3]
	v_mul_f64_e32 v[2:3], v[38:39], v[2:3]
	;; [unrolled: 1-line block ×10, first 2 shown]
	v_fma_f64 v[38:39], v[38:39], v[0:1], -v[58:59]
	v_fma_f64 v[0:1], v[40:41], v[0:1], v[2:3]
	v_fma_f64 v[2:3], v[42:43], v[4:5], -v[87:88]
	v_fma_f64 v[4:5], v[44:45], v[4:5], v[6:7]
	v_fma_f64 v[6:7], v[48:49], v[8:9], v[89:90]
	;; [unrolled: 1-line block ×3, first 2 shown]
	v_fma_f64 v[12:13], v[50:51], v[12:13], -v[14:15]
	v_fma_f64 v[8:9], v[46:47], v[8:9], -v[10:11]
	v_mul_f64_e32 v[10:11], v[56:57], v[24:25]
	v_mul_f64_e32 v[14:15], v[68:69], v[28:29]
	;; [unrolled: 1-line block ×8, first 2 shown]
	v_fma_f64 v[46:47], v[78:79], v[18:19], -v[93:94]
	v_fma_f64 v[18:19], v[80:81], v[18:19], v[20:21]
	v_add_f64_e64 v[80:81], v[4:5], -v[0:1]
	v_add_f64_e32 v[20:21], v[4:5], v[6:7]
	v_add_f64_e32 v[48:49], v[0:1], v[40:41]
	;; [unrolled: 1-line block ×4, first 2 shown]
	v_fma_f64 v[10:11], v[54:55], v[22:23], -v[10:11]
	v_fma_f64 v[14:15], v[66:67], v[26:27], -v[14:15]
	v_fma_f64 v[26:27], v[68:69], v[26:27], v[28:29]
	v_fma_f64 v[28:29], v[70:71], v[30:31], -v[42:43]
	v_fma_f64 v[42:43], v[74:75], v[34:35], -v[44:45]
	v_fma_f64 v[30:31], v[72:73], v[30:31], v[32:33]
	v_fma_f64 v[22:23], v[56:57], v[22:23], v[24:25]
	;; [unrolled: 1-line block ×3, first 2 shown]
	v_add_f64_e64 v[32:33], v[0:1], -v[40:41]
	v_add_f64_e64 v[34:35], v[4:5], -v[6:7]
	;; [unrolled: 1-line block ×11, first 2 shown]
	v_add_f64_e32 v[38:39], v[46:47], v[38:39]
	v_add_f64_e32 v[0:1], v[18:19], v[0:1]
	v_fma_f64 v[20:21], v[20:21], -0.5, v[18:19]
	v_fma_f64 v[48:49], v[48:49], -0.5, v[18:19]
	;; [unrolled: 1-line block ×4, first 2 shown]
	v_add_f64_e32 v[97:98], v[83:84], v[10:11]
	v_add_f64_e32 v[54:55], v[14:15], v[28:29]
	;; [unrolled: 1-line block ×6, first 2 shown]
	v_add_f64_e64 v[18:19], v[22:23], -v[24:25]
	v_add_f64_e64 v[46:47], v[26:27], -v[30:31]
	;; [unrolled: 1-line block ×4, first 2 shown]
	v_add_f64_e32 v[68:69], v[68:69], v[70:71]
	v_add_f64_e32 v[70:71], v[72:73], v[74:75]
	v_add_f64_e32 v[72:73], v[76:77], v[78:79]
	v_add_f64_e32 v[74:75], v[80:81], v[87:88]
	v_add_f64_e64 v[87:88], v[30:31], -v[24:25]
	v_add_f64_e32 v[2:3], v[38:39], v[2:3]
	v_add_f64_e32 v[0:1], v[0:1], v[4:5]
	v_fma_f64 v[89:90], v[36:37], s[0:1], v[20:21]
	v_fma_f64 v[91:92], v[44:45], s[4:5], v[48:49]
	;; [unrolled: 1-line block ×8, first 2 shown]
	v_fma_f64 v[54:55], v[54:55], -0.5, v[83:84]
	v_fma_f64 v[56:57], v[56:57], -0.5, v[83:84]
	;; [unrolled: 1-line block ×4, first 2 shown]
	v_add_f64_e64 v[85:86], v[24:25], -v[30:31]
	v_add_f64_e32 v[2:3], v[2:3], v[8:9]
	v_add_f64_e32 v[0:1], v[0:1], v[6:7]
	v_fma_f64 v[76:77], v[44:45], s[12:13], v[89:90]
	v_fma_f64 v[78:79], v[36:37], s[12:13], v[91:92]
	;; [unrolled: 1-line block ×8, first 2 shown]
	v_add_f64_e64 v[44:45], v[10:11], -v[14:15]
	v_add_f64_e64 v[48:49], v[42:43], -v[28:29]
	;; [unrolled: 1-line block ×6, first 2 shown]
	v_add_f64_e32 v[14:15], v[97:98], v[14:15]
	v_add_f64_e32 v[26:27], v[99:100], v[26:27]
	v_fma_f64 v[4:5], v[18:19], s[4:5], v[54:55]
	v_fma_f64 v[38:39], v[18:19], s[0:1], v[54:55]
	;; [unrolled: 1-line block ×8, first 2 shown]
	v_add_f64_e32 v[12:13], v[2:3], v[12:13]
	v_fma_f64 v[76:77], v[72:73], s[14:15], v[76:77]
	v_fma_f64 v[78:79], v[74:75], s[14:15], v[78:79]
	;; [unrolled: 1-line block ×8, first 2 shown]
	v_add_f64_e32 v[44:45], v[44:45], v[48:49]
	v_add_f64_e32 v[10:11], v[10:11], v[50:51]
	;; [unrolled: 1-line block ×6, first 2 shown]
	v_fma_f64 v[4:5], v[46:47], s[10:11], v[4:5]
	v_fma_f64 v[6:7], v[46:47], s[12:13], v[38:39]
	;; [unrolled: 1-line block ×8, first 2 shown]
	v_mul_f64_e32 v[50:51], s[10:11], v[76:77]
	v_mul_f64_e32 v[52:53], s[4:5], v[78:79]
	;; [unrolled: 1-line block ×8, first 2 shown]
	v_add_f64_e32 v[14:15], v[14:15], v[42:43]
	v_add_f64_e32 v[24:25], v[26:27], v[24:25]
	;; [unrolled: 1-line block ×3, first 2 shown]
	v_fma_f64 v[40:41], v[44:45], s[14:15], v[4:5]
	v_fma_f64 v[42:43], v[44:45], s[14:15], v[6:7]
	;; [unrolled: 1-line block ×10, first 2 shown]
	v_fma_f64 v[36:37], v[36:37], s[4:5], -v[54:55]
	v_fma_f64 v[52:53], v[20:21], s[10:11], -v[56:57]
	v_fma_f64 v[54:55], v[76:77], s[16:17], v[58:59]
	v_fma_f64 v[56:57], v[78:79], s[14:15], v[66:67]
	v_fma_f64 v[58:59], v[80:81], s[0:1], -v[68:69]
	v_fma_f64 v[66:67], v[83:84], s[12:13], -v[70:71]
	v_cmp_gt_u32_e64 s0, 0x64, v62
	v_add_f64_e32 v[0:1], v[14:15], v[12:13]
	v_add_f64_e64 v[32:33], v[14:15], -v[12:13]
	v_add_f64_e32 v[2:3], v[24:25], v[26:27]
	v_add_f64_e64 v[34:35], v[24:25], -v[26:27]
	v_add_f64_e32 v[20:21], v[40:41], v[8:9]
	v_add_f64_e32 v[4:5], v[44:45], v[50:51]
	;; [unrolled: 1-line block ×8, first 2 shown]
	v_add_f64_e64 v[8:9], v[40:41], -v[8:9]
	v_add_f64_e64 v[12:13], v[44:45], -v[50:51]
	;; [unrolled: 1-line block ×8, first 2 shown]
	ds_store_b128 v16, v[0:3]
	ds_store_b128 v16, v[20:23] offset:160
	ds_store_b128 v16, v[4:7] offset:320
	;; [unrolled: 1-line block ×9, first 2 shown]
	global_wb scope:SCOPE_SE
	s_wait_dscnt 0x0
	s_barrier_signal -1
	s_barrier_wait -1
	global_inv scope:SCOPE_SE
                                        ; implicit-def: $vgpr50_vgpr51
                                        ; implicit-def: $vgpr18_vgpr19
                                        ; implicit-def: $vgpr46_vgpr47
	s_and_saveexec_b32 s1, s0
	s_cbranch_execz .LBB0_21
; %bb.20:
	ds_load_b128 v[0:3], v82
	ds_load_b128 v[20:23], v82 offset:1600
	ds_load_b128 v[4:7], v82 offset:3200
	;; [unrolled: 1-line block ×12, first 2 shown]
.LBB0_21:
	s_wait_alu 0xfffe
	s_or_b32 exec_lo, exec_lo, s1
	global_wb scope:SCOPE_SE
	s_wait_dscnt 0x0
	s_barrier_signal -1
	s_barrier_wait -1
	global_inv scope:SCOPE_SE
	s_and_saveexec_b32 s33, s0
	s_cbranch_execz .LBB0_23
; %bb.22:
	v_dual_mov_b32 v53, 0 :: v_dual_add_nc_u32 v52, 0xffffff9c, v62
	s_mov_b32 s10, 0xebaa3ed8
	s_mov_b32 s18, 0x1ea71119
	;; [unrolled: 1-line block ×3, first 2 shown]
	s_delay_alu instid0(VALU_DEP_1)
	v_cndmask_b32_e64 v52, v52, v62, s0
	s_mov_b32 s36, 0xe00740e9
	s_mov_b32 s11, 0x3fbedb7d
	;; [unrolled: 1-line block ×4, first 2 shown]
	v_mul_i32_i24_e32 v52, 12, v52
	s_mov_b32 s37, 0x3fec55a7
	s_mov_b32 s38, 0x4267c47c
	;; [unrolled: 1-line block ×4, first 2 shown]
	v_lshlrev_b64_e32 v[52:53], 4, v[52:53]
	s_mov_b32 s40, s38
	s_mov_b32 s26, 0x66966769
	;; [unrolled: 1-line block ×5, first 2 shown]
	v_add_co_u32 v68, s0, s8, v52
	s_wait_alu 0xf1ff
	v_add_co_ci_u32_e64 v69, s0, s9, v53, s0
	s_mov_b32 s8, 0xb2365da1
	s_mov_b32 s0, 0x93053d00
	;; [unrolled: 1-line block ×3, first 2 shown]
	s_clause 0x1
	global_load_b128 v[56:59], v[68:69], off offset:1440
	global_load_b128 v[52:55], v[68:69], off offset:1456
	s_mov_b32 s1, 0xbfef11f4
	s_mov_b32 s16, 0x24c2f84
	;; [unrolled: 1-line block ×12, first 2 shown]
	s_wait_alu 0xfffe
	s_mov_b32 s20, s26
	s_mov_b32 s30, s12
	;; [unrolled: 1-line block ×5, first 2 shown]
	s_wait_loadcnt 0x1
	v_mul_f64_e32 v[66:67], v[20:21], v[58:59]
	s_delay_alu instid0(VALU_DEP_1) | instskip(SKIP_1) | instid1(VALU_DEP_1)
	v_fma_f64 v[66:67], v[22:23], v[56:57], v[66:67]
	v_mul_f64_e32 v[22:23], v[22:23], v[58:59]
	v_fma_f64 v[83:84], v[20:21], v[56:57], -v[22:23]
	s_clause 0x1
	global_load_b128 v[56:59], v[68:69], off offset:1616
	global_load_b128 v[70:73], v[68:69], off offset:1600
	s_wait_loadcnt 0x1
	v_mul_f64_e32 v[20:21], v[48:49], v[58:59]
	v_mul_f64_e32 v[22:23], v[50:51], v[58:59]
	s_delay_alu instid0(VALU_DEP_2) | instskip(NEXT) | instid1(VALU_DEP_2)
	v_fma_f64 v[20:21], v[50:51], v[56:57], v[20:21]
	v_fma_f64 v[22:23], v[48:49], v[56:57], -v[22:23]
	s_clause 0x1
	global_load_b128 v[56:59], v[68:69], off offset:1504
	global_load_b128 v[74:77], v[68:69], off offset:1520
	v_add_f64_e32 v[95:96], v[83:84], v[22:23]
	s_wait_loadcnt 0x1
	v_mul_f64_e32 v[48:49], v[32:33], v[58:59]
	s_delay_alu instid0(VALU_DEP_1) | instskip(SKIP_1) | instid1(VALU_DEP_1)
	v_fma_f64 v[48:49], v[34:35], v[56:57], v[48:49]
	v_mul_f64_e32 v[34:35], v[34:35], v[58:59]
	v_fma_f64 v[32:33], v[32:33], v[56:57], -v[34:35]
	global_load_b128 v[56:59], v[68:69], off offset:1472
	s_wait_loadcnt 0x0
	v_mul_f64_e32 v[34:35], v[24:25], v[58:59]
	s_delay_alu instid0(VALU_DEP_1) | instskip(SKIP_1) | instid1(VALU_DEP_1)
	v_fma_f64 v[34:35], v[26:27], v[56:57], v[34:35]
	v_mul_f64_e32 v[26:27], v[26:27], v[58:59]
	v_fma_f64 v[50:51], v[24:25], v[56:57], -v[26:27]
	s_clause 0x1
	global_load_b128 v[56:59], v[68:69], off offset:1584
	global_load_b128 v[78:81], v[68:69], off offset:1568
	s_wait_loadcnt 0x1
	v_mul_f64_e32 v[24:25], v[44:45], v[58:59]
	v_mul_f64_e32 v[26:27], v[46:47], v[58:59]
	s_delay_alu instid0(VALU_DEP_2) | instskip(NEXT) | instid1(VALU_DEP_2)
	v_fma_f64 v[24:25], v[46:47], v[56:57], v[24:25]
	v_fma_f64 v[26:27], v[44:45], v[56:57], -v[26:27]
	global_load_b128 v[56:59], v[68:69], off offset:1488
	v_add_f64_e32 v[123:124], v[34:35], v[24:25]
	v_add_f64_e64 v[125:126], v[34:35], -v[24:25]
	v_add_f64_e32 v[127:128], v[50:51], v[26:27]
	s_delay_alu instid0(VALU_DEP_3) | instskip(SKIP_1) | instid1(VALU_DEP_3)
	v_mul_f64_e32 v[169:170], s[0:1], v[123:124]
	s_wait_alu 0xfffe
	v_mul_f64_e32 v[171:172], s[24:25], v[125:126]
	s_wait_loadcnt 0x0
	v_mul_f64_e32 v[44:45], v[28:29], v[58:59]
	s_delay_alu instid0(VALU_DEP_1) | instskip(SKIP_1) | instid1(VALU_DEP_1)
	v_fma_f64 v[44:45], v[30:31], v[56:57], v[44:45]
	v_mul_f64_e32 v[30:31], v[30:31], v[58:59]
	v_fma_f64 v[46:47], v[28:29], v[56:57], -v[30:31]
	v_mul_f64_e32 v[28:29], v[40:41], v[80:81]
	v_mul_f64_e32 v[30:31], v[42:43], v[80:81]
	s_delay_alu instid0(VALU_DEP_2) | instskip(NEXT) | instid1(VALU_DEP_2)
	v_fma_f64 v[28:29], v[42:43], v[78:79], v[28:29]
	v_fma_f64 v[30:31], v[40:41], v[78:79], -v[30:31]
	s_clause 0x1
	global_load_b128 v[56:59], v[68:69], off offset:1552
	global_load_b128 v[78:81], v[68:69], off offset:1536
	v_add_f64_e64 v[68:69], v[83:84], -v[22:23]
	v_add_f64_e32 v[129:130], v[44:45], v[28:29]
	v_add_f64_e64 v[131:132], v[46:47], -v[30:31]
	v_add_f64_e32 v[135:136], v[46:47], v[30:31]
	s_delay_alu instid0(VALU_DEP_3) | instskip(SKIP_2) | instid1(VALU_DEP_1)
	v_mul_f64_e32 v[173:174], s[4:5], v[129:130]
	s_wait_loadcnt 0x1
	v_mul_f64_e32 v[40:41], v[36:37], v[58:59]
	v_fma_f64 v[40:41], v[38:39], v[56:57], v[40:41]
	v_mul_f64_e32 v[38:39], v[38:39], v[58:59]
	s_delay_alu instid0(VALU_DEP_1) | instskip(SKIP_1) | instid1(VALU_DEP_2)
	v_fma_f64 v[36:37], v[36:37], v[56:57], -v[38:39]
	v_mul_f64_e32 v[38:39], v[8:9], v[76:77]
	v_add_f64_e64 v[141:142], v[32:33], -v[36:37]
	s_delay_alu instid0(VALU_DEP_2) | instskip(SKIP_2) | instid1(VALU_DEP_2)
	v_fma_f64 v[38:39], v[10:11], v[74:75], v[38:39]
	v_mul_f64_e32 v[10:11], v[10:11], v[76:77]
	v_add_f64_e32 v[147:148], v[32:33], v[36:37]
	v_fma_f64 v[8:9], v[8:9], v[74:75], -v[10:11]
	s_wait_loadcnt 0x0
	v_mul_f64_e32 v[10:11], v[12:13], v[80:81]
	s_delay_alu instid0(VALU_DEP_1) | instskip(SKIP_1) | instid1(VALU_DEP_1)
	v_fma_f64 v[10:11], v[14:15], v[78:79], v[10:11]
	v_mul_f64_e32 v[14:15], v[14:15], v[80:81]
	v_fma_f64 v[12:13], v[12:13], v[78:79], -v[14:15]
	v_mul_f64_e32 v[14:15], v[4:5], v[54:55]
	s_delay_alu instid0(VALU_DEP_2) | instskip(NEXT) | instid1(VALU_DEP_2)
	v_add_f64_e64 v[153:154], v[8:9], -v[12:13]
	v_fma_f64 v[14:15], v[6:7], v[52:53], v[14:15]
	v_mul_f64_e32 v[6:7], v[6:7], v[54:55]
	v_add_f64_e32 v[159:160], v[8:9], v[12:13]
	s_delay_alu instid0(VALU_DEP_2) | instskip(SKIP_2) | instid1(VALU_DEP_2)
	v_fma_f64 v[42:43], v[4:5], v[52:53], -v[6:7]
	v_mul_f64_e32 v[6:7], v[18:19], v[72:73]
	v_mul_f64_e32 v[4:5], v[16:17], v[72:73]
	v_fma_f64 v[6:7], v[16:17], v[70:71], -v[6:7]
	v_add_f64_e32 v[16:17], v[66:67], v[20:21]
	s_delay_alu instid0(VALU_DEP_3) | instskip(NEXT) | instid1(VALU_DEP_2)
	v_fma_f64 v[4:5], v[18:19], v[70:71], v[4:5]
	v_mul_f64_e32 v[18:19], s[0:1], v[16:17]
	v_mul_f64_e32 v[52:53], s[4:5], v[16:17]
	;; [unrolled: 1-line block ×6, first 2 shown]
	v_fma_f64 v[70:71], v[68:69], s[14:15], v[18:19]
	v_fma_f64 v[72:73], v[68:69], s[24:25], v[18:19]
	;; [unrolled: 1-line block ×7, first 2 shown]
	v_add_f64_e64 v[16:17], v[66:67], -v[20:21]
	v_fma_f64 v[54:55], v[68:69], s[30:31], v[54:55]
	v_fma_f64 v[85:86], v[68:69], s[20:21], v[56:57]
	;; [unrolled: 1-line block ×5, first 2 shown]
	v_add_f64_e32 v[70:71], v[2:3], v[70:71]
	v_add_f64_e32 v[113:114], v[2:3], v[74:75]
	;; [unrolled: 1-line block ×5, first 2 shown]
	v_mul_f64_e32 v[80:81], s[26:27], v[16:17]
	v_mul_f64_e32 v[18:19], s[24:25], v[16:17]
	;; [unrolled: 1-line block ×6, first 2 shown]
	v_add_f64_e32 v[76:77], v[2:3], v[85:86]
	v_add_f64_e32 v[121:122], v[2:3], v[56:57]
	;; [unrolled: 1-line block ×3, first 2 shown]
	v_mul_f64_e32 v[91:92], s[4:5], v[123:124]
	v_fma_f64 v[105:106], v[95:96], s[10:11], v[80:81]
	v_fma_f64 v[97:98], v[95:96], s[0:1], v[18:19]
	v_fma_f64 v[99:100], v[95:96], s[0:1], -v[18:19]
	v_fma_f64 v[101:102], v[95:96], s[4:5], v[68:69]
	v_fma_f64 v[68:69], v[95:96], s[4:5], -v[68:69]
	;; [unrolled: 2-line block ×3, first 2 shown]
	v_fma_f64 v[107:108], v[95:96], s[10:11], -v[80:81]
	v_fma_f64 v[109:110], v[95:96], s[18:19], v[93:94]
	v_fma_f64 v[93:94], v[95:96], s[18:19], -v[93:94]
	v_fma_f64 v[111:112], v[95:96], s[36:37], v[16:17]
	v_fma_f64 v[95:96], v[95:96], s[36:37], -v[16:17]
	v_add_f64_e32 v[16:17], v[2:3], v[66:67]
	v_add_f64_e32 v[18:19], v[0:1], v[83:84]
	;; [unrolled: 1-line block ×19, first 2 shown]
	v_add_f64_e64 v[0:1], v[42:43], -v[6:7]
	v_add_f64_e64 v[111:112], v[14:15], -v[4:5]
	v_mul_f64_e32 v[87:88], s[36:37], v[58:59]
	v_mul_f64_e32 v[165:166], s[8:9], v[58:59]
	v_mul_f64_e32 v[185:186], s[0:1], v[58:59]
	s_delay_alu instid0(VALU_DEP_4) | instskip(SKIP_3) | instid1(VALU_DEP_2)
	v_mul_f64_e32 v[89:90], s[40:41], v[111:112]
	v_mul_f64_e32 v[167:168], s[30:31], v[111:112]
	v_fma_f64 v[72:73], v[0:1], s[38:39], v[87:88]
	v_fma_f64 v[87:88], v[0:1], s[40:41], v[87:88]
	v_add_f64_e32 v[85:86], v[72:73], v[70:71]
	v_add_f64_e32 v[70:71], v[42:43], v[6:7]
	s_delay_alu instid0(VALU_DEP_3) | instskip(SKIP_1) | instid1(VALU_DEP_3)
	v_add_f64_e32 v[87:88], v[87:88], v[97:98]
	v_mul_f64_e32 v[97:98], s[20:21], v[111:112]
	v_fma_f64 v[72:73], v[70:71], s[36:37], v[89:90]
	v_fma_f64 v[89:90], v[70:71], s[36:37], -v[89:90]
	s_delay_alu instid0(VALU_DEP_2) | instskip(SKIP_1) | instid1(VALU_DEP_3)
	v_add_f64_e32 v[83:84], v[72:73], v[83:84]
	v_add_f64_e64 v[72:73], v[50:51], -v[26:27]
	v_add_f64_e32 v[89:90], v[89:90], v[99:100]
	v_mul_f64_e32 v[99:100], s[18:19], v[123:124]
	s_delay_alu instid0(VALU_DEP_3) | instskip(SKIP_1) | instid1(VALU_DEP_2)
	v_fma_f64 v[93:94], v[72:73], s[16:17], v[91:92]
	v_fma_f64 v[91:92], v[72:73], s[28:29], v[91:92]
	v_add_f64_e32 v[85:86], v[93:94], v[85:86]
	v_mul_f64_e32 v[93:94], s[28:29], v[125:126]
	s_delay_alu instid0(VALU_DEP_3) | instskip(NEXT) | instid1(VALU_DEP_2)
	v_add_f64_e32 v[87:88], v[91:92], v[87:88]
	v_fma_f64 v[95:96], v[127:128], s[4:5], v[93:94]
	v_fma_f64 v[91:92], v[127:128], s[4:5], -v[93:94]
	s_delay_alu instid0(VALU_DEP_2) | instskip(SKIP_1) | instid1(VALU_DEP_3)
	v_add_f64_e32 v[83:84], v[95:96], v[83:84]
	v_mul_f64_e32 v[95:96], s[18:19], v[129:130]
	v_add_f64_e32 v[89:90], v[91:92], v[89:90]
	s_delay_alu instid0(VALU_DEP_2) | instskip(SKIP_2) | instid1(VALU_DEP_3)
	v_fma_f64 v[133:134], v[131:132], s[34:35], v[95:96]
	v_fma_f64 v[91:92], v[131:132], s[22:23], v[95:96]
	v_mul_f64_e32 v[95:96], s[10:11], v[58:59]
	v_add_f64_e32 v[85:86], v[133:134], v[85:86]
	v_add_f64_e64 v[133:134], v[44:45], -v[28:29]
	s_delay_alu instid0(VALU_DEP_4) | instskip(NEXT) | instid1(VALU_DEP_2)
	v_add_f64_e32 v[87:88], v[91:92], v[87:88]
	v_mul_f64_e32 v[137:138], s[22:23], v[133:134]
	v_mul_f64_e32 v[175:176], s[16:17], v[133:134]
	s_delay_alu instid0(VALU_DEP_2) | instskip(SKIP_1) | instid1(VALU_DEP_2)
	v_fma_f64 v[139:140], v[135:136], s[18:19], v[137:138]
	v_fma_f64 v[91:92], v[135:136], s[18:19], -v[137:138]
	v_add_f64_e32 v[83:84], v[139:140], v[83:84]
	v_add_f64_e32 v[139:140], v[48:49], v[40:41]
	s_delay_alu instid0(VALU_DEP_3) | instskip(NEXT) | instid1(VALU_DEP_2)
	v_add_f64_e32 v[89:90], v[91:92], v[89:90]
	v_mul_f64_e32 v[143:144], s[8:9], v[139:140]
	v_mul_f64_e32 v[177:178], s[10:11], v[139:140]
	s_delay_alu instid0(VALU_DEP_2) | instskip(SKIP_1) | instid1(VALU_DEP_2)
	v_fma_f64 v[145:146], v[141:142], s[12:13], v[143:144]
	v_fma_f64 v[91:92], v[141:142], s[30:31], v[143:144]
	v_add_f64_e32 v[85:86], v[145:146], v[85:86]
	v_add_f64_e64 v[145:146], v[48:49], -v[40:41]
	s_delay_alu instid0(VALU_DEP_3) | instskip(NEXT) | instid1(VALU_DEP_2)
	v_add_f64_e32 v[87:88], v[91:92], v[87:88]
	v_mul_f64_e32 v[149:150], s[30:31], v[145:146]
	v_mul_f64_e32 v[179:180], s[20:21], v[145:146]
	s_delay_alu instid0(VALU_DEP_2) | instskip(SKIP_1) | instid1(VALU_DEP_2)
	v_fma_f64 v[151:152], v[147:148], s[8:9], v[149:150]
	v_fma_f64 v[91:92], v[147:148], s[8:9], -v[149:150]
	v_add_f64_e32 v[83:84], v[151:152], v[83:84]
	v_add_f64_e32 v[151:152], v[38:39], v[10:11]
	s_delay_alu instid0(VALU_DEP_3) | instskip(NEXT) | instid1(VALU_DEP_2)
	v_add_f64_e32 v[91:92], v[91:92], v[89:90]
	v_mul_f64_e32 v[155:156], s[10:11], v[151:152]
	v_mul_f64_e32 v[181:182], s[36:37], v[151:152]
	s_delay_alu instid0(VALU_DEP_2) | instskip(SKIP_1) | instid1(VALU_DEP_2)
	v_fma_f64 v[157:158], v[153:154], s[26:27], v[155:156]
	v_fma_f64 v[89:90], v[153:154], s[20:21], v[155:156]
	v_add_f64_e32 v[85:86], v[157:158], v[85:86]
	v_add_f64_e64 v[157:158], v[38:39], -v[10:11]
	s_delay_alu instid0(VALU_DEP_3) | instskip(NEXT) | instid1(VALU_DEP_2)
	v_add_f64_e32 v[89:90], v[89:90], v[87:88]
	v_mul_f64_e32 v[161:162], s[20:21], v[157:158]
	v_mul_f64_e32 v[183:184], s[40:41], v[157:158]
	s_delay_alu instid0(VALU_DEP_2) | instskip(SKIP_2) | instid1(VALU_DEP_3)
	v_fma_f64 v[93:94], v[159:160], s[10:11], -v[161:162]
	v_fma_f64 v[163:164], v[159:160], s[10:11], v[161:162]
	v_mul_f64_e32 v[161:162], s[8:9], v[151:152]
	v_add_f64_e32 v[87:88], v[93:94], v[91:92]
	v_fma_f64 v[91:92], v[0:1], s[26:27], v[95:96]
	v_fma_f64 v[93:94], v[70:71], s[10:11], v[97:98]
	;; [unrolled: 1-line block ×3, first 2 shown]
	v_fma_f64 v[97:98], v[70:71], s[10:11], -v[97:98]
	v_add_f64_e32 v[83:84], v[163:164], v[83:84]
	v_mul_f64_e32 v[163:164], s[30:31], v[157:158]
	v_add_f64_e32 v[91:92], v[91:92], v[113:114]
	v_add_f64_e32 v[93:94], v[93:94], v[101:102]
	v_fma_f64 v[101:102], v[72:73], s[22:23], v[99:100]
	v_add_f64_e32 v[95:96], v[95:96], v[115:116]
	v_fma_f64 v[99:100], v[72:73], s[34:35], v[99:100]
	v_add_f64_e32 v[97:98], v[97:98], v[117:118]
	v_mul_f64_e32 v[115:116], s[16:17], v[111:112]
	v_mul_f64_e32 v[117:118], s[36:37], v[123:124]
	v_add_f64_e32 v[91:92], v[101:102], v[91:92]
	v_mul_f64_e32 v[101:102], s[34:35], v[125:126]
	v_add_f64_e32 v[95:96], v[99:100], v[95:96]
	s_delay_alu instid0(VALU_DEP_2) | instskip(SKIP_2) | instid1(VALU_DEP_3)
	v_fma_f64 v[113:114], v[127:128], s[18:19], v[101:102]
	v_fma_f64 v[99:100], v[127:128], s[18:19], -v[101:102]
	v_fma_f64 v[101:102], v[159:160], s[8:9], -v[163:164]
	v_add_f64_e32 v[93:94], v[113:114], v[93:94]
	v_mul_f64_e32 v[113:114], s[0:1], v[129:130]
	s_delay_alu instid0(VALU_DEP_4) | instskip(NEXT) | instid1(VALU_DEP_2)
	v_add_f64_e32 v[97:98], v[99:100], v[97:98]
	v_fma_f64 v[137:138], v[131:132], s[24:25], v[113:114]
	v_fma_f64 v[99:100], v[131:132], s[14:15], v[113:114]
	v_mul_f64_e32 v[113:114], s[4:5], v[58:59]
	s_delay_alu instid0(VALU_DEP_3) | instskip(SKIP_1) | instid1(VALU_DEP_4)
	v_add_f64_e32 v[91:92], v[137:138], v[91:92]
	v_mul_f64_e32 v[137:138], s[14:15], v[133:134]
	v_add_f64_e32 v[95:96], v[99:100], v[95:96]
	s_delay_alu instid0(VALU_DEP_2) | instskip(SKIP_2) | instid1(VALU_DEP_3)
	v_fma_f64 v[143:144], v[135:136], s[0:1], v[137:138]
	v_fma_f64 v[99:100], v[135:136], s[0:1], -v[137:138]
	v_mul_f64_e32 v[137:138], s[10:11], v[129:130]
	v_add_f64_e32 v[93:94], v[143:144], v[93:94]
	v_mul_f64_e32 v[143:144], s[36:37], v[139:140]
	s_delay_alu instid0(VALU_DEP_4) | instskip(NEXT) | instid1(VALU_DEP_2)
	v_add_f64_e32 v[97:98], v[99:100], v[97:98]
	v_fma_f64 v[149:150], v[141:142], s[38:39], v[143:144]
	v_fma_f64 v[99:100], v[141:142], s[40:41], v[143:144]
	v_mul_f64_e32 v[143:144], s[26:27], v[133:134]
	s_delay_alu instid0(VALU_DEP_3) | instskip(SKIP_1) | instid1(VALU_DEP_4)
	v_add_f64_e32 v[91:92], v[149:150], v[91:92]
	v_mul_f64_e32 v[149:150], s[40:41], v[145:146]
	v_add_f64_e32 v[95:96], v[99:100], v[95:96]
	s_delay_alu instid0(VALU_DEP_2) | instskip(SKIP_2) | instid1(VALU_DEP_3)
	v_fma_f64 v[99:100], v[147:148], s[36:37], -v[149:150]
	v_fma_f64 v[155:156], v[147:148], s[36:37], v[149:150]
	v_mul_f64_e32 v[149:150], s[0:1], v[139:140]
	v_add_f64_e32 v[99:100], v[99:100], v[97:98]
	v_fma_f64 v[97:98], v[153:154], s[30:31], v[161:162]
	s_delay_alu instid0(VALU_DEP_4) | instskip(SKIP_2) | instid1(VALU_DEP_4)
	v_add_f64_e32 v[155:156], v[155:156], v[93:94]
	v_fma_f64 v[93:94], v[153:154], s[12:13], v[161:162]
	v_mul_f64_e32 v[161:162], s[18:19], v[151:152]
	v_add_f64_e32 v[97:98], v[97:98], v[95:96]
	v_add_f64_e32 v[95:96], v[101:102], v[99:100]
	v_fma_f64 v[99:100], v[0:1], s[28:29], v[113:114]
	v_fma_f64 v[101:102], v[70:71], s[4:5], v[115:116]
	v_add_f64_e32 v[93:94], v[93:94], v[91:92]
	v_fma_f64 v[91:92], v[159:160], s[8:9], v[163:164]
	v_mul_f64_e32 v[163:164], s[22:23], v[157:158]
	v_fma_f64 v[113:114], v[0:1], s[16:17], v[113:114]
	v_add_f64_e32 v[99:100], v[99:100], v[119:120]
	v_add_f64_e32 v[101:102], v[101:102], v[103:104]
	v_fma_f64 v[103:104], v[72:73], s[38:39], v[117:118]
	v_mul_f64_e32 v[119:120], s[40:41], v[125:126]
	v_add_f64_e32 v[91:92], v[91:92], v[155:156]
	v_mul_f64_e32 v[155:156], s[14:15], v[145:146]
	v_add_f64_e32 v[80:81], v[113:114], v[80:81]
	v_fma_f64 v[113:114], v[70:71], s[4:5], -v[115:116]
	v_fma_f64 v[115:116], v[159:160], s[18:19], -v[163:164]
	v_add_f64_e32 v[99:100], v[103:104], v[99:100]
	v_fma_f64 v[103:104], v[127:128], s[36:37], v[119:120]
	s_delay_alu instid0(VALU_DEP_4) | instskip(SKIP_2) | instid1(VALU_DEP_4)
	v_add_f64_e32 v[78:79], v[113:114], v[78:79]
	v_fma_f64 v[113:114], v[72:73], s[40:41], v[117:118]
	v_mul_f64_e32 v[117:118], s[26:27], v[125:126]
	v_add_f64_e32 v[101:102], v[103:104], v[101:102]
	v_fma_f64 v[103:104], v[131:132], s[20:21], v[137:138]
	s_delay_alu instid0(VALU_DEP_4) | instskip(SKIP_2) | instid1(VALU_DEP_4)
	v_add_f64_e32 v[80:81], v[113:114], v[80:81]
	v_fma_f64 v[113:114], v[127:128], s[36:37], -v[119:120]
	v_mul_f64_e32 v[119:120], s[8:9], v[129:130]
	v_add_f64_e32 v[99:100], v[103:104], v[99:100]
	v_fma_f64 v[103:104], v[135:136], s[10:11], v[143:144]
	s_delay_alu instid0(VALU_DEP_4) | instskip(SKIP_1) | instid1(VALU_DEP_3)
	v_add_f64_e32 v[78:79], v[113:114], v[78:79]
	v_fma_f64 v[113:114], v[131:132], s[26:27], v[137:138]
	v_add_f64_e32 v[101:102], v[103:104], v[101:102]
	v_fma_f64 v[103:104], v[141:142], s[24:25], v[149:150]
	s_delay_alu instid0(VALU_DEP_3) | instskip(SKIP_1) | instid1(VALU_DEP_3)
	v_add_f64_e32 v[80:81], v[113:114], v[80:81]
	v_fma_f64 v[113:114], v[135:136], s[10:11], -v[143:144]
	v_add_f64_e32 v[99:100], v[103:104], v[99:100]
	v_fma_f64 v[103:104], v[147:148], s[0:1], v[155:156]
	s_delay_alu instid0(VALU_DEP_3) | instskip(SKIP_1) | instid1(VALU_DEP_3)
	v_add_f64_e32 v[78:79], v[113:114], v[78:79]
	v_fma_f64 v[113:114], v[141:142], s[14:15], v[149:150]
	v_add_f64_e32 v[103:104], v[103:104], v[101:102]
	v_fma_f64 v[101:102], v[153:154], s[34:35], v[161:162]
	s_delay_alu instid0(VALU_DEP_3) | instskip(SKIP_1) | instid1(VALU_DEP_3)
	v_add_f64_e32 v[80:81], v[113:114], v[80:81]
	v_fma_f64 v[113:114], v[147:148], s[0:1], -v[155:156]
	v_add_f64_e32 v[101:102], v[101:102], v[99:100]
	v_fma_f64 v[99:100], v[159:160], s[18:19], v[163:164]
	s_delay_alu instid0(VALU_DEP_3) | instskip(SKIP_1) | instid1(VALU_DEP_3)
	v_add_f64_e32 v[78:79], v[113:114], v[78:79]
	v_fma_f64 v[113:114], v[153:154], s[22:23], v[161:162]
	v_add_f64_e32 v[99:100], v[99:100], v[103:104]
	v_fma_f64 v[103:104], v[0:1], s[30:31], v[165:166]
	s_delay_alu instid0(VALU_DEP_4) | instskip(NEXT) | instid1(VALU_DEP_4)
	v_add_f64_e32 v[78:79], v[115:116], v[78:79]
	v_add_f64_e32 v[80:81], v[113:114], v[80:81]
	v_fma_f64 v[113:114], v[0:1], s[14:15], v[185:186]
	s_delay_alu instid0(VALU_DEP_4) | instskip(SKIP_1) | instid1(VALU_DEP_3)
	v_add_f64_e32 v[103:104], v[103:104], v[105:106]
	v_fma_f64 v[105:106], v[70:71], s[8:9], -v[167:168]
	v_add_f64_e32 v[76:77], v[113:114], v[76:77]
	s_delay_alu instid0(VALU_DEP_2) | instskip(SKIP_1) | instid1(VALU_DEP_1)
	v_add_f64_e32 v[105:106], v[105:106], v[109:110]
	v_fma_f64 v[109:110], v[72:73], s[24:25], v[169:170]
	v_add_f64_e32 v[103:104], v[109:110], v[103:104]
	v_fma_f64 v[109:110], v[127:128], s[0:1], -v[171:172]
	s_delay_alu instid0(VALU_DEP_1) | instskip(SKIP_1) | instid1(VALU_DEP_1)
	v_add_f64_e32 v[105:106], v[109:110], v[105:106]
	v_fma_f64 v[109:110], v[131:132], s[16:17], v[173:174]
	v_add_f64_e32 v[103:104], v[109:110], v[103:104]
	v_fma_f64 v[109:110], v[135:136], s[4:5], -v[175:176]
	s_delay_alu instid0(VALU_DEP_1) | instskip(SKIP_1) | instid1(VALU_DEP_1)
	;; [unrolled: 5-line block ×4, first 2 shown]
	v_add_f64_e32 v[103:104], v[103:104], v[109:110]
	v_fma_f64 v[109:110], v[0:1], s[24:25], v[185:186]
	v_add_f64_e32 v[109:110], v[109:110], v[121:122]
	v_mul_f64_e32 v[121:122], s[24:25], v[111:112]
	v_mul_f64_e32 v[111:112], s[34:35], v[111:112]
	s_delay_alu instid0(VALU_DEP_2) | instskip(SKIP_2) | instid1(VALU_DEP_3)
	v_fma_f64 v[187:188], v[70:71], s[0:1], -v[121:122]
	v_fma_f64 v[113:114], v[70:71], s[0:1], v[121:122]
	v_mul_f64_e32 v[121:122], s[30:31], v[133:134]
	v_add_f64_e32 v[107:108], v[187:188], v[107:108]
	v_mul_f64_e32 v[187:188], s[8:9], v[123:124]
	s_delay_alu instid0(VALU_DEP_4) | instskip(NEXT) | instid1(VALU_DEP_2)
	v_add_f64_e32 v[74:75], v[113:114], v[74:75]
	v_fma_f64 v[189:190], v[72:73], s[12:13], v[187:188]
	v_fma_f64 v[113:114], v[72:73], s[30:31], v[187:188]
	s_delay_alu instid0(VALU_DEP_2) | instskip(SKIP_1) | instid1(VALU_DEP_3)
	v_add_f64_e32 v[109:110], v[189:190], v[109:110]
	v_mul_f64_e32 v[189:190], s[12:13], v[125:126]
	v_add_f64_e32 v[76:77], v[113:114], v[76:77]
	v_mul_f64_e32 v[125:126], s[28:29], v[145:146]
	s_delay_alu instid0(VALU_DEP_3) | instskip(SKIP_1) | instid1(VALU_DEP_2)
	v_fma_f64 v[191:192], v[127:128], s[8:9], -v[189:190]
	v_fma_f64 v[113:114], v[127:128], s[8:9], v[189:190]
	v_add_f64_e32 v[107:108], v[191:192], v[107:108]
	v_mul_f64_e32 v[191:192], s[36:37], v[129:130]
	s_delay_alu instid0(VALU_DEP_3) | instskip(SKIP_1) | instid1(VALU_DEP_3)
	v_add_f64_e32 v[74:75], v[113:114], v[74:75]
	v_mul_f64_e32 v[129:130], s[0:1], v[151:152]
	v_fma_f64 v[193:194], v[131:132], s[40:41], v[191:192]
	v_fma_f64 v[113:114], v[131:132], s[38:39], v[191:192]
	s_delay_alu instid0(VALU_DEP_2) | instskip(SKIP_1) | instid1(VALU_DEP_3)
	v_add_f64_e32 v[109:110], v[193:194], v[109:110]
	v_mul_f64_e32 v[193:194], s[40:41], v[133:134]
	v_add_f64_e32 v[76:77], v[113:114], v[76:77]
	v_mul_f64_e32 v[133:134], s[24:25], v[157:158]
	s_delay_alu instid0(VALU_DEP_3) | instskip(SKIP_1) | instid1(VALU_DEP_2)
	v_fma_f64 v[195:196], v[135:136], s[36:37], -v[193:194]
	v_fma_f64 v[113:114], v[135:136], s[36:37], v[193:194]
	v_add_f64_e32 v[107:108], v[195:196], v[107:108]
	v_mul_f64_e32 v[195:196], s[18:19], v[139:140]
	s_delay_alu instid0(VALU_DEP_3) | instskip(NEXT) | instid1(VALU_DEP_2)
	v_add_f64_e32 v[74:75], v[113:114], v[74:75]
	v_fma_f64 v[197:198], v[141:142], s[34:35], v[195:196]
	v_fma_f64 v[113:114], v[141:142], s[22:23], v[195:196]
	s_delay_alu instid0(VALU_DEP_2) | instskip(SKIP_1) | instid1(VALU_DEP_3)
	v_add_f64_e32 v[109:110], v[197:198], v[109:110]
	v_mul_f64_e32 v[197:198], s[34:35], v[145:146]
	v_add_f64_e32 v[76:77], v[113:114], v[76:77]
	s_delay_alu instid0(VALU_DEP_2) | instskip(SKIP_1) | instid1(VALU_DEP_2)
	v_fma_f64 v[199:200], v[147:148], s[18:19], -v[197:198]
	v_fma_f64 v[113:114], v[147:148], s[18:19], v[197:198]
	v_add_f64_e32 v[107:108], v[199:200], v[107:108]
	v_mul_f64_e32 v[199:200], s[4:5], v[151:152]
	s_delay_alu instid0(VALU_DEP_3) | instskip(NEXT) | instid1(VALU_DEP_2)
	v_add_f64_e32 v[74:75], v[113:114], v[74:75]
	v_fma_f64 v[113:114], v[153:154], s[16:17], v[199:200]
	v_fma_f64 v[201:202], v[153:154], s[28:29], v[199:200]
	s_delay_alu instid0(VALU_DEP_2) | instskip(SKIP_1) | instid1(VALU_DEP_3)
	v_add_f64_e32 v[76:77], v[113:114], v[76:77]
	v_fma_f64 v[113:114], v[0:1], s[12:13], v[165:166]
	v_add_f64_e32 v[109:110], v[201:202], v[109:110]
	v_mul_f64_e32 v[201:202], s[28:29], v[157:158]
	s_delay_alu instid0(VALU_DEP_3) | instskip(SKIP_1) | instid1(VALU_DEP_3)
	v_add_f64_e32 v[68:69], v[113:114], v[68:69]
	v_fma_f64 v[113:114], v[70:71], s[8:9], v[167:168]
	v_fma_f64 v[115:116], v[159:160], s[4:5], v[201:202]
	v_fma_f64 v[203:204], v[159:160], s[4:5], -v[201:202]
	s_delay_alu instid0(VALU_DEP_3) | instskip(SKIP_1) | instid1(VALU_DEP_4)
	v_add_f64_e32 v[66:67], v[113:114], v[66:67]
	v_fma_f64 v[113:114], v[72:73], s[14:15], v[169:170]
	v_add_f64_e32 v[74:75], v[115:116], v[74:75]
	v_fma_f64 v[115:116], v[159:160], s[36:37], v[183:184]
	v_add_f64_e32 v[107:108], v[203:204], v[107:108]
	s_delay_alu instid0(VALU_DEP_4) | instskip(SKIP_1) | instid1(VALU_DEP_1)
	v_add_f64_e32 v[68:69], v[113:114], v[68:69]
	v_fma_f64 v[113:114], v[127:128], s[0:1], v[171:172]
	v_add_f64_e32 v[66:67], v[113:114], v[66:67]
	v_fma_f64 v[113:114], v[131:132], s[28:29], v[173:174]
	s_delay_alu instid0(VALU_DEP_1) | instskip(SKIP_1) | instid1(VALU_DEP_1)
	v_add_f64_e32 v[68:69], v[113:114], v[68:69]
	v_fma_f64 v[113:114], v[135:136], s[4:5], v[175:176]
	v_add_f64_e32 v[66:67], v[113:114], v[66:67]
	v_fma_f64 v[113:114], v[141:142], s[26:27], v[177:178]
	s_delay_alu instid0(VALU_DEP_1) | instskip(SKIP_1) | instid1(VALU_DEP_1)
	v_add_f64_e32 v[68:69], v[113:114], v[68:69]
	v_fma_f64 v[113:114], v[147:148], s[10:11], v[179:180]
	v_add_f64_e32 v[66:67], v[113:114], v[66:67]
	v_fma_f64 v[113:114], v[153:154], s[38:39], v[181:182]
	s_delay_alu instid0(VALU_DEP_2) | instskip(NEXT) | instid1(VALU_DEP_2)
	v_add_f64_e32 v[66:67], v[115:116], v[66:67]
	v_add_f64_e32 v[68:69], v[113:114], v[68:69]
	v_mul_f64_e32 v[113:114], s[18:19], v[58:59]
	v_mul_f64_e32 v[115:116], s[10:11], v[123:124]
	;; [unrolled: 1-line block ×3, first 2 shown]
	s_delay_alu instid0(VALU_DEP_3) | instskip(SKIP_1) | instid1(VALU_DEP_2)
	v_fma_f64 v[58:59], v[0:1], s[34:35], v[113:114]
	v_fma_f64 v[0:1], v[0:1], s[22:23], v[113:114]
	v_add_f64_e32 v[56:57], v[58:59], v[56:57]
	v_fma_f64 v[58:59], v[70:71], s[18:19], -v[111:112]
	s_delay_alu instid0(VALU_DEP_3) | instskip(NEXT) | instid1(VALU_DEP_2)
	v_add_f64_e32 v[0:1], v[0:1], v[52:53]
	v_add_f64_e32 v[2:3], v[58:59], v[2:3]
	v_fma_f64 v[58:59], v[72:73], s[26:27], v[115:116]
	s_delay_alu instid0(VALU_DEP_1) | instskip(SKIP_1) | instid1(VALU_DEP_1)
	v_add_f64_e32 v[56:57], v[58:59], v[56:57]
	v_fma_f64 v[58:59], v[127:128], s[10:11], -v[117:118]
	v_add_f64_e32 v[2:3], v[58:59], v[2:3]
	v_fma_f64 v[58:59], v[131:132], s[30:31], v[119:120]
	s_delay_alu instid0(VALU_DEP_1) | instskip(SKIP_1) | instid1(VALU_DEP_1)
	v_add_f64_e32 v[56:57], v[58:59], v[56:57]
	v_fma_f64 v[58:59], v[135:136], s[8:9], -v[121:122]
	v_add_f64_e32 v[2:3], v[58:59], v[2:3]
	v_fma_f64 v[58:59], v[141:142], s[28:29], v[123:124]
	s_delay_alu instid0(VALU_DEP_1) | instskip(SKIP_1) | instid1(VALU_DEP_1)
	v_add_f64_e32 v[56:57], v[58:59], v[56:57]
	v_fma_f64 v[58:59], v[147:148], s[4:5], -v[125:126]
	v_add_f64_e32 v[2:3], v[58:59], v[2:3]
	v_fma_f64 v[58:59], v[153:154], s[24:25], v[129:130]
	s_delay_alu instid0(VALU_DEP_1) | instskip(SKIP_1) | instid1(VALU_DEP_1)
	v_add_f64_e32 v[58:59], v[58:59], v[56:57]
	v_fma_f64 v[56:57], v[159:160], s[0:1], -v[133:134]
	v_add_f64_e32 v[56:57], v[56:57], v[2:3]
	v_add_f64_e32 v[2:3], v[16:17], v[14:15]
	;; [unrolled: 1-line block ×3, first 2 shown]
	s_delay_alu instid0(VALU_DEP_2) | instskip(NEXT) | instid1(VALU_DEP_2)
	v_add_f64_e32 v[2:3], v[2:3], v[34:35]
	v_add_f64_e32 v[14:15], v[14:15], v[50:51]
	s_delay_alu instid0(VALU_DEP_2) | instskip(NEXT) | instid1(VALU_DEP_2)
	v_add_f64_e32 v[2:3], v[2:3], v[44:45]
	v_add_f64_e32 v[14:15], v[14:15], v[46:47]
	;; [unrolled: 3-line block ×4, first 2 shown]
	v_fma_f64 v[14:15], v[135:136], s[8:9], v[121:122]
	s_delay_alu instid0(VALU_DEP_3) | instskip(NEXT) | instid1(VALU_DEP_3)
	v_add_f64_e32 v[2:3], v[2:3], v[10:11]
	v_add_f64_e32 v[8:9], v[8:9], v[12:13]
	v_fma_f64 v[10:11], v[127:128], s[10:11], v[117:118]
	v_fma_f64 v[12:13], v[131:132], s[12:13], v[119:120]
	s_delay_alu instid0(VALU_DEP_4) | instskip(NEXT) | instid1(VALU_DEP_4)
	v_add_f64_e32 v[2:3], v[2:3], v[40:41]
	v_add_f64_e32 v[8:9], v[8:9], v[36:37]
	s_delay_alu instid0(VALU_DEP_2) | instskip(NEXT) | instid1(VALU_DEP_2)
	v_add_f64_e32 v[2:3], v[2:3], v[28:29]
	v_add_f64_e32 v[8:9], v[8:9], v[30:31]
	s_delay_alu instid0(VALU_DEP_2) | instskip(NEXT) | instid1(VALU_DEP_2)
	v_add_f64_e32 v[2:3], v[2:3], v[24:25]
	v_add_f64_e32 v[8:9], v[8:9], v[26:27]
	s_delay_alu instid0(VALU_DEP_2) | instskip(NEXT) | instid1(VALU_DEP_2)
	v_add_f64_e32 v[2:3], v[2:3], v[4:5]
	v_add_f64_e32 v[6:7], v[8:9], v[6:7]
	v_fma_f64 v[8:9], v[72:73], s[20:21], v[115:116]
	s_delay_alu instid0(VALU_DEP_3) | instskip(NEXT) | instid1(VALU_DEP_3)
	v_add_f64_e32 v[4:5], v[2:3], v[20:21]
	v_add_f64_e32 v[2:3], v[6:7], v[22:23]
	v_fma_f64 v[6:7], v[70:71], s[18:19], v[111:112]
	s_delay_alu instid0(VALU_DEP_4) | instskip(SKIP_1) | instid1(VALU_DEP_3)
	v_add_f64_e32 v[0:1], v[8:9], v[0:1]
	v_fma_f64 v[8:9], v[141:142], s[16:17], v[123:124]
	v_add_f64_e32 v[6:7], v[6:7], v[54:55]
	s_delay_alu instid0(VALU_DEP_3) | instskip(SKIP_1) | instid1(VALU_DEP_3)
	v_add_f64_e32 v[0:1], v[12:13], v[0:1]
	v_fma_f64 v[12:13], v[153:154], s[14:15], v[129:130]
	v_add_f64_e32 v[6:7], v[10:11], v[6:7]
	v_fma_f64 v[10:11], v[147:148], s[4:5], v[125:126]
	s_delay_alu instid0(VALU_DEP_4) | instskip(NEXT) | instid1(VALU_DEP_3)
	v_add_f64_e32 v[0:1], v[8:9], v[0:1]
	v_add_f64_e32 v[6:7], v[14:15], v[6:7]
	v_fma_f64 v[14:15], v[159:160], s[0:1], v[133:134]
	s_delay_alu instid0(VALU_DEP_3) | instskip(NEXT) | instid1(VALU_DEP_3)
	v_add_f64_e32 v[8:9], v[12:13], v[0:1]
	v_add_f64_e32 v[6:7], v[10:11], v[6:7]
	s_delay_alu instid0(VALU_DEP_1)
	v_add_f64_e32 v[6:7], v[14:15], v[6:7]
	ds_store_b128 v82, v[103:106] offset:3200
	ds_store_b128 v82, v[107:110] offset:4800
	;; [unrolled: 1-line block ×11, first 2 shown]
	ds_store_b128 v82, v[2:5]
	ds_store_b128 v82, v[6:9] offset:19200
.LBB0_23:
	s_or_b32 exec_lo, exec_lo, s33
	global_wb scope:SCOPE_SE
	s_wait_dscnt 0x0
	s_barrier_signal -1
	s_barrier_wait -1
	global_inv scope:SCOPE_SE
	s_and_saveexec_b32 s0, vcc_lo
	s_cbranch_execz .LBB0_25
; %bb.24:
	v_mul_lo_u32 v2, s3, v64
	v_mul_lo_u32 v3, s2, v65
	v_mad_co_u64_u32 v[0:1], null, s2, v64, 0
	v_dual_mov_b32 v63, 0 :: v_dual_add_nc_u32 v10, 0x82, v62
	v_lshlrev_b64_e32 v[8:9], 4, v[60:61]
	v_lshl_add_u32 v34, v62, 4, 0
	s_delay_alu instid0(VALU_DEP_3) | instskip(SKIP_4) | instid1(VALU_DEP_4)
	v_dual_mov_b32 v11, v63 :: v_dual_add_nc_u32 v12, 0x104, v62
	v_add3_u32 v1, v1, v3, v2
	v_lshlrev_b64_e32 v[14:15], 4, v[62:63]
	v_dual_mov_b32 v13, v63 :: v_dual_add_nc_u32 v22, 0x186, v62
	v_dual_mov_b32 v23, v63 :: v_dual_add_nc_u32 v24, 0x208, v62
	v_lshlrev_b64_e32 v[16:17], 4, v[0:1]
	ds_load_b128 v[0:3], v34
	ds_load_b128 v[4:7], v34 offset:2080
	v_mov_b32_e32 v25, v63
	v_lshlrev_b64_e32 v[22:23], 4, v[22:23]
	v_add_co_u32 v18, vcc_lo, s6, v16
	s_wait_alu 0xfffd
	v_add_co_ci_u32_e32 v19, vcc_lo, s7, v17, vcc_lo
	v_lshlrev_b64_e32 v[16:17], 4, v[10:11]
	s_delay_alu instid0(VALU_DEP_3) | instskip(SKIP_1) | instid1(VALU_DEP_3)
	v_add_co_u32 v36, vcc_lo, v18, v8
	s_wait_alu 0xfffd
	v_add_co_ci_u32_e32 v37, vcc_lo, v19, v9, vcc_lo
	v_lshlrev_b64_e32 v[18:19], 4, v[12:13]
	s_delay_alu instid0(VALU_DEP_3) | instskip(SKIP_1) | instid1(VALU_DEP_3)
	v_add_co_u32 v20, vcc_lo, v36, v14
	s_wait_alu 0xfffd
	v_add_co_ci_u32_e32 v21, vcc_lo, v37, v15, vcc_lo
	ds_load_b128 v[8:11], v34 offset:4160
	ds_load_b128 v[12:15], v34 offset:6240
	v_add_co_u32 v16, vcc_lo, v36, v16
	s_wait_alu 0xfffd
	v_add_co_ci_u32_e32 v17, vcc_lo, v37, v17, vcc_lo
	v_add_co_u32 v18, vcc_lo, v36, v18
	s_wait_alu 0xfffd
	v_add_co_ci_u32_e32 v19, vcc_lo, v37, v19, vcc_lo
	v_add_co_u32 v22, vcc_lo, v36, v22
	s_wait_dscnt 0x3
	global_store_b128 v[20:21], v[0:3], off
	s_wait_dscnt 0x2
	global_store_b128 v[16:17], v[4:7], off
	v_dual_mov_b32 v3, v63 :: v_dual_add_nc_u32 v2, 0x28a, v62
	s_wait_alu 0xfffd
	v_add_co_ci_u32_e32 v23, vcc_lo, v37, v23, vcc_lo
	v_lshlrev_b64_e32 v[0:1], 4, v[24:25]
	s_wait_dscnt 0x1
	global_store_b128 v[18:19], v[8:11], off
	s_wait_dscnt 0x0
	global_store_b128 v[22:23], v[12:15], off
	v_add_nc_u32_e32 v10, 0x30c, v62
	v_lshlrev_b64_e32 v[8:9], 4, v[2:3]
	v_add_co_u32 v24, vcc_lo, v36, v0
	v_dual_mov_b32 v11, v63 :: v_dual_add_nc_u32 v16, 0x38e, v62
	s_wait_alu 0xfffd
	v_add_co_ci_u32_e32 v25, vcc_lo, v37, v1, vcc_lo
	s_delay_alu instid0(VALU_DEP_4)
	v_add_co_u32 v26, vcc_lo, v36, v8
	s_wait_alu 0xfffd
	v_add_co_ci_u32_e32 v27, vcc_lo, v37, v9, vcc_lo
	v_lshlrev_b64_e32 v[8:9], 4, v[10:11]
	v_dual_mov_b32 v17, v63 :: v_dual_add_nc_u32 v18, 0x410, v62
	v_dual_mov_b32 v19, v63 :: v_dual_add_nc_u32 v62, 0x492, v62
	ds_load_b128 v[0:3], v34 offset:8320
	ds_load_b128 v[4:7], v34 offset:10400
	v_add_co_u32 v28, vcc_lo, v36, v8
	s_wait_alu 0xfffd
	v_add_co_ci_u32_e32 v29, vcc_lo, v37, v9, vcc_lo
	ds_load_b128 v[8:11], v34 offset:12480
	ds_load_b128 v[12:15], v34 offset:14560
	v_lshlrev_b64_e32 v[30:31], 4, v[16:17]
	v_lshlrev_b64_e32 v[32:33], 4, v[18:19]
	ds_load_b128 v[16:19], v34 offset:16640
	ds_load_b128 v[20:23], v34 offset:18720
	v_lshlrev_b64_e32 v[34:35], 4, v[62:63]
	v_add_co_u32 v30, vcc_lo, v36, v30
	s_wait_alu 0xfffd
	v_add_co_ci_u32_e32 v31, vcc_lo, v37, v31, vcc_lo
	v_add_co_u32 v32, vcc_lo, v36, v32
	s_wait_alu 0xfffd
	v_add_co_ci_u32_e32 v33, vcc_lo, v37, v33, vcc_lo
	;; [unrolled: 3-line block ×3, first 2 shown]
	s_wait_dscnt 0x5
	global_store_b128 v[24:25], v[0:3], off
	s_wait_dscnt 0x4
	global_store_b128 v[26:27], v[4:7], off
	;; [unrolled: 2-line block ×6, first 2 shown]
.LBB0_25:
	s_nop 0
	s_sendmsg sendmsg(MSG_DEALLOC_VGPRS)
	s_endpgm
	.section	.rodata,"a",@progbits
	.p2align	6, 0x0
	.amdhsa_kernel fft_rtc_fwd_len1300_factors_10_10_13_wgs_130_tpt_130_dp_op_CI_CI_unitstride_sbrr_C2R_dirReg
		.amdhsa_group_segment_fixed_size 0
		.amdhsa_private_segment_fixed_size 0
		.amdhsa_kernarg_size 104
		.amdhsa_user_sgpr_count 2
		.amdhsa_user_sgpr_dispatch_ptr 0
		.amdhsa_user_sgpr_queue_ptr 0
		.amdhsa_user_sgpr_kernarg_segment_ptr 1
		.amdhsa_user_sgpr_dispatch_id 0
		.amdhsa_user_sgpr_private_segment_size 0
		.amdhsa_wavefront_size32 1
		.amdhsa_uses_dynamic_stack 0
		.amdhsa_enable_private_segment 0
		.amdhsa_system_sgpr_workgroup_id_x 1
		.amdhsa_system_sgpr_workgroup_id_y 0
		.amdhsa_system_sgpr_workgroup_id_z 0
		.amdhsa_system_sgpr_workgroup_info 0
		.amdhsa_system_vgpr_workitem_id 0
		.amdhsa_next_free_vgpr 205
		.amdhsa_next_free_sgpr 42
		.amdhsa_reserve_vcc 1
		.amdhsa_float_round_mode_32 0
		.amdhsa_float_round_mode_16_64 0
		.amdhsa_float_denorm_mode_32 3
		.amdhsa_float_denorm_mode_16_64 3
		.amdhsa_fp16_overflow 0
		.amdhsa_workgroup_processor_mode 1
		.amdhsa_memory_ordered 1
		.amdhsa_forward_progress 0
		.amdhsa_round_robin_scheduling 0
		.amdhsa_exception_fp_ieee_invalid_op 0
		.amdhsa_exception_fp_denorm_src 0
		.amdhsa_exception_fp_ieee_div_zero 0
		.amdhsa_exception_fp_ieee_overflow 0
		.amdhsa_exception_fp_ieee_underflow 0
		.amdhsa_exception_fp_ieee_inexact 0
		.amdhsa_exception_int_div_zero 0
	.end_amdhsa_kernel
	.text
.Lfunc_end0:
	.size	fft_rtc_fwd_len1300_factors_10_10_13_wgs_130_tpt_130_dp_op_CI_CI_unitstride_sbrr_C2R_dirReg, .Lfunc_end0-fft_rtc_fwd_len1300_factors_10_10_13_wgs_130_tpt_130_dp_op_CI_CI_unitstride_sbrr_C2R_dirReg
                                        ; -- End function
	.section	.AMDGPU.csdata,"",@progbits
; Kernel info:
; codeLenInByte = 10264
; NumSgprs: 44
; NumVgprs: 205
; ScratchSize: 0
; MemoryBound: 0
; FloatMode: 240
; IeeeMode: 1
; LDSByteSize: 0 bytes/workgroup (compile time only)
; SGPRBlocks: 5
; VGPRBlocks: 25
; NumSGPRsForWavesPerEU: 44
; NumVGPRsForWavesPerEU: 205
; Occupancy: 7
; WaveLimiterHint : 1
; COMPUTE_PGM_RSRC2:SCRATCH_EN: 0
; COMPUTE_PGM_RSRC2:USER_SGPR: 2
; COMPUTE_PGM_RSRC2:TRAP_HANDLER: 0
; COMPUTE_PGM_RSRC2:TGID_X_EN: 1
; COMPUTE_PGM_RSRC2:TGID_Y_EN: 0
; COMPUTE_PGM_RSRC2:TGID_Z_EN: 0
; COMPUTE_PGM_RSRC2:TIDIG_COMP_CNT: 0
	.text
	.p2alignl 7, 3214868480
	.fill 96, 4, 3214868480
	.type	__hip_cuid_e5b8682879334162,@object ; @__hip_cuid_e5b8682879334162
	.section	.bss,"aw",@nobits
	.globl	__hip_cuid_e5b8682879334162
__hip_cuid_e5b8682879334162:
	.byte	0                               ; 0x0
	.size	__hip_cuid_e5b8682879334162, 1

	.ident	"AMD clang version 19.0.0git (https://github.com/RadeonOpenCompute/llvm-project roc-6.4.0 25133 c7fe45cf4b819c5991fe208aaa96edf142730f1d)"
	.section	".note.GNU-stack","",@progbits
	.addrsig
	.addrsig_sym __hip_cuid_e5b8682879334162
	.amdgpu_metadata
---
amdhsa.kernels:
  - .args:
      - .actual_access:  read_only
        .address_space:  global
        .offset:         0
        .size:           8
        .value_kind:     global_buffer
      - .offset:         8
        .size:           8
        .value_kind:     by_value
      - .actual_access:  read_only
        .address_space:  global
        .offset:         16
        .size:           8
        .value_kind:     global_buffer
      - .actual_access:  read_only
        .address_space:  global
        .offset:         24
        .size:           8
        .value_kind:     global_buffer
      - .actual_access:  read_only
        .address_space:  global
        .offset:         32
        .size:           8
        .value_kind:     global_buffer
      - .offset:         40
        .size:           8
        .value_kind:     by_value
      - .actual_access:  read_only
        .address_space:  global
        .offset:         48
        .size:           8
        .value_kind:     global_buffer
      - .actual_access:  read_only
        .address_space:  global
        .offset:         56
        .size:           8
        .value_kind:     global_buffer
      - .offset:         64
        .size:           4
        .value_kind:     by_value
      - .actual_access:  read_only
        .address_space:  global
        .offset:         72
        .size:           8
        .value_kind:     global_buffer
      - .actual_access:  read_only
        .address_space:  global
        .offset:         80
        .size:           8
        .value_kind:     global_buffer
      - .actual_access:  read_only
        .address_space:  global
        .offset:         88
        .size:           8
        .value_kind:     global_buffer
      - .actual_access:  write_only
        .address_space:  global
        .offset:         96
        .size:           8
        .value_kind:     global_buffer
    .group_segment_fixed_size: 0
    .kernarg_segment_align: 8
    .kernarg_segment_size: 104
    .language:       OpenCL C
    .language_version:
      - 2
      - 0
    .max_flat_workgroup_size: 130
    .name:           fft_rtc_fwd_len1300_factors_10_10_13_wgs_130_tpt_130_dp_op_CI_CI_unitstride_sbrr_C2R_dirReg
    .private_segment_fixed_size: 0
    .sgpr_count:     44
    .sgpr_spill_count: 0
    .symbol:         fft_rtc_fwd_len1300_factors_10_10_13_wgs_130_tpt_130_dp_op_CI_CI_unitstride_sbrr_C2R_dirReg.kd
    .uniform_work_group_size: 1
    .uses_dynamic_stack: false
    .vgpr_count:     205
    .vgpr_spill_count: 0
    .wavefront_size: 32
    .workgroup_processor_mode: 1
amdhsa.target:   amdgcn-amd-amdhsa--gfx1201
amdhsa.version:
  - 1
  - 2
...

	.end_amdgpu_metadata
